;; amdgpu-corpus repo=ROCm/rocFFT kind=compiled arch=gfx906 opt=O3
	.text
	.amdgcn_target "amdgcn-amd-amdhsa--gfx906"
	.amdhsa_code_object_version 6
	.protected	bluestein_single_back_len1750_dim1_dp_op_CI_CI ; -- Begin function bluestein_single_back_len1750_dim1_dp_op_CI_CI
	.globl	bluestein_single_back_len1750_dim1_dp_op_CI_CI
	.p2align	8
	.type	bluestein_single_back_len1750_dim1_dp_op_CI_CI,@function
bluestein_single_back_len1750_dim1_dp_op_CI_CI: ; @bluestein_single_back_len1750_dim1_dp_op_CI_CI
; %bb.0:
	s_load_dwordx4 s[16:19], s[4:5], 0x28
	s_mov_b64 s[38:39], s[2:3]
	v_mul_u32_u24_e32 v1, 0x177, v0
	s_mov_b64 s[36:37], s[0:1]
	v_add_u32_sdwa v4, s6, v1 dst_sel:DWORD dst_unused:UNUSED_PAD src0_sel:DWORD src1_sel:WORD_1
	v_mov_b32_e32 v5, 0
	s_add_u32 s36, s36, s7
	s_waitcnt lgkmcnt(0)
	v_cmp_gt_u64_e32 vcc, s[16:17], v[4:5]
	s_addc_u32 s37, s37, 0
	s_and_saveexec_b64 s[0:1], vcc
	s_cbranch_execz .LBB0_10
; %bb.1:
	s_load_dwordx4 s[0:3], s[4:5], 0x18
	s_load_dwordx4 s[12:15], s[4:5], 0x0
	v_mov_b32_e32 v5, v4
	s_mov_b32 s16, 0x134454ff
	s_mov_b32 s17, 0x3fee6f0e
	s_waitcnt lgkmcnt(0)
	s_load_dwordx4 s[8:11], s[0:1], 0x0
	s_movk_i32 s0, 0xaf
	v_mul_lo_u16_sdwa v1, v1, s0 dst_sel:DWORD dst_unused:UNUSED_PAD src0_sel:WORD_1 src1_sel:DWORD
	v_sub_u16_e32 v252, v0, v1
	buffer_store_dword v5, off, s[36:39], 0 offset:32 ; 4-byte Folded Spill
	s_nop 0
	buffer_store_dword v6, off, s[36:39], 0 offset:36 ; 4-byte Folded Spill
	s_waitcnt lgkmcnt(0)
	v_mad_u64_u32 v[0:1], s[6:7], s10, v4, 0
	v_mad_u64_u32 v[2:3], s[6:7], s8, v252, 0
	v_lshlrev_b32_e32 v251, 4, v252
	s_mul_i32 s1, s9, 0x36b0
	v_mad_u64_u32 v[4:5], s[6:7], s11, v4, v[1:2]
	s_movk_i32 s20, 0xcd
                                        ; implicit-def: $vgpr172_vgpr173
	v_mad_u64_u32 v[5:6], s[6:7], s9, v252, v[3:4]
	v_mov_b32_e32 v1, v4
	v_lshlrev_b64 v[0:1], 4, v[0:1]
	v_mov_b32_e32 v6, s19
	v_mov_b32_e32 v3, v5
	v_add_co_u32_e32 v4, vcc, s18, v0
	v_addc_co_u32_e32 v5, vcc, v6, v1, vcc
	v_lshlrev_b64 v[0:1], 4, v[2:3]
	s_mul_hi_u32 s6, s8, 0x36b0
	v_add_co_u32_e32 v4, vcc, v4, v0
	v_addc_co_u32_e32 v5, vcc, v5, v1, vcc
	v_mov_b32_e32 v0, s13
	v_add_co_u32_e32 v10, vcc, s12, v251
	v_addc_co_u32_e32 v11, vcc, 0, v0, vcc
	s_add_i32 s1, s6, s1
	s_mul_i32 s6, s8, 0x36b0
	v_mov_b32_e32 v0, s1
	v_add_co_u32_e32 v6, vcc, s6, v4
	v_addc_co_u32_e32 v7, vcc, v5, v0, vcc
	s_movk_i32 s7, 0x3000
	global_load_dwordx4 v[0:3], v[4:5], off
	global_load_dwordx4 v[40:43], v[6:7], off
	v_add_co_u32_e32 v4, vcc, s7, v10
	v_addc_co_u32_e32 v5, vcc, 0, v11, vcc
	global_load_dwordx4 v[76:79], v[4:5], off offset:1712
	s_mul_i32 s7, s9, 0xffffd440
	s_mul_hi_u32 s9, s8, 0xffffd440
	s_sub_i32 s9, s9, s8
	s_add_i32 s7, s9, s7
	s_mulk_i32 s8, 0xd440
	v_mov_b32_e32 v5, s7
	v_add_co_u32_e32 v4, vcc, s8, v6
	v_addc_co_u32_e32 v5, vcc, v7, v5, vcc
	v_mov_b32_e32 v7, s1
	v_add_co_u32_e32 v6, vcc, s6, v4
	v_addc_co_u32_e32 v7, vcc, v5, v7, vcc
	s_movk_i32 s9, 0x4000
	global_load_dwordx4 v[36:39], v251, s[12:13]
	global_load_dwordx4 v[80:83], v251, s[12:13] offset:2800
	global_load_dwordx4 v[44:47], v[4:5], off
	global_load_dwordx4 v[48:51], v[6:7], off
	v_add_co_u32_e32 v4, vcc, s9, v10
	v_addc_co_u32_e32 v5, vcc, 0, v11, vcc
	v_mov_b32_e32 v8, s7
	v_add_co_u32_e32 v6, vcc, s8, v6
	v_addc_co_u32_e32 v7, vcc, v7, v8, vcc
	s_movk_i32 s9, 0x1000
	v_add_co_u32_e32 v8, vcc, s9, v10
	v_addc_co_u32_e32 v9, vcc, 0, v11, vcc
	global_load_dwordx4 v[52:55], v[6:7], off
	global_load_dwordx4 v[84:87], v[8:9], off offset:1504
	v_mov_b32_e32 v8, s1
	v_add_co_u32_e32 v6, vcc, s6, v6
	v_addc_co_u32_e32 v7, vcc, v7, v8, vcc
	global_load_dwordx4 v[56:59], v[6:7], off
	global_load_dwordx4 v[16:19], v[4:5], off offset:416
	global_load_dwordx4 v[12:15], v[4:5], off offset:3216
	v_mov_b32_e32 v5, s7
	v_add_co_u32_e32 v4, vcc, s8, v6
	v_addc_co_u32_e32 v5, vcc, v7, v5, vcc
	s_movk_i32 s9, 0x2000
	v_add_co_u32_e32 v6, vcc, s9, v10
	v_addc_co_u32_e32 v7, vcc, 0, v11, vcc
	global_load_dwordx4 v[60:63], v[4:5], off
	v_add_co_u32_e32 v4, vcc, s6, v4
	v_addc_co_u32_e32 v5, vcc, v5, v8, vcc
	s_movk_i32 s9, 0x5000
	v_add_co_u32_e32 v8, vcc, s9, v10
	v_addc_co_u32_e32 v9, vcc, 0, v11, vcc
	global_load_dwordx4 v[64:67], v[4:5], off
	global_load_dwordx4 v[20:23], v[8:9], off offset:1920
	v_mov_b32_e32 v8, s7
	v_add_co_u32_e32 v4, vcc, s8, v4
	v_addc_co_u32_e32 v5, vcc, v5, v8, vcc
	global_load_dwordx4 v[68:71], v[4:5], off
	global_load_dwordx4 v[32:35], v[6:7], off offset:208
	global_load_dwordx4 v[24:27], v[6:7], off offset:3008
	v_mov_b32_e32 v6, s1
	v_add_co_u32_e32 v4, vcc, s6, v4
	v_addc_co_u32_e32 v5, vcc, v5, v6, vcc
	s_movk_i32 s1, 0x6000
	global_load_dwordx4 v[72:75], v[4:5], off
	v_add_co_u32_e32 v4, vcc, s1, v10
	v_addc_co_u32_e32 v5, vcc, 0, v11, vcc
	s_waitcnt vmcnt(16)
	v_mul_f64 v[8:9], v[42:43], v[78:79]
	global_load_dwordx4 v[28:31], v[4:5], off offset:624
	v_mul_f64 v[10:11], v[40:41], v[78:79]
	v_add_co_u32_e32 v204, vcc, s0, v252
	s_mov_b32 s19, 0xbfee6f0e
	s_mov_b32 s18, s16
	;; [unrolled: 1-line block ×3, first 2 shown]
	v_fma_f64 v[40:41], v[40:41], v[76:77], v[8:9]
	buffer_store_dword v76, off, s[36:39], 0 ; 4-byte Folded Spill
	s_nop 0
	buffer_store_dword v77, off, s[36:39], 0 offset:4 ; 4-byte Folded Spill
	buffer_store_dword v78, off, s[36:39], 0 offset:8 ; 4-byte Folded Spill
	;; [unrolled: 1-line block ×3, first 2 shown]
	s_load_dwordx4 s[8:11], s[2:3], 0x0
	s_mov_b32 s1, 0x3fe2cf23
	s_mov_b32 s7, 0xbfe2cf23
	;; [unrolled: 1-line block ×5, first 2 shown]
	s_waitcnt vmcnt(20)
	v_mul_f64 v[4:5], v[2:3], v[38:39]
	v_mul_f64 v[6:7], v[0:1], v[38:39]
	v_fma_f64 v[0:1], v[0:1], v[36:37], v[4:5]
	v_fma_f64 v[2:3], v[2:3], v[36:37], -v[6:7]
	s_waitcnt vmcnt(15)
	v_mul_f64 v[8:9], v[54:55], v[86:87]
	s_waitcnt vmcnt(13)
	v_mul_f64 v[4:5], v[50:51], v[18:19]
	v_mul_f64 v[6:7], v[48:49], v[18:19]
	s_waitcnt vmcnt(12)
	v_mul_f64 v[78:79], v[56:57], v[14:15]
	v_fma_f64 v[42:43], v[42:43], v[76:77], -v[10:11]
	ds_write_b128 v251, v[0:3]
	ds_write_b128 v251, v[40:43] offset:14000
	v_mul_f64 v[0:1], v[46:47], v[82:83]
	v_mul_f64 v[2:3], v[44:45], v[82:83]
	;; [unrolled: 1-line block ×4, first 2 shown]
	v_fma_f64 v[40:41], v[48:49], v[16:17], v[4:5]
	v_fma_f64 v[42:43], v[50:51], v[16:17], -v[6:7]
	s_waitcnt vmcnt(7)
	v_mul_f64 v[4:5], v[62:63], v[34:35]
	v_mul_f64 v[6:7], v[60:61], v[34:35]
	v_fma_f64 v[0:1], v[44:45], v[80:81], v[0:1]
	buffer_store_dword v80, off, s[36:39], 0 offset:16 ; 4-byte Folded Spill
	s_nop 0
	buffer_store_dword v81, off, s[36:39], 0 offset:20 ; 4-byte Folded Spill
	buffer_store_dword v82, off, s[36:39], 0 offset:24 ; 4-byte Folded Spill
	;; [unrolled: 1-line block ×3, first 2 shown]
	v_fma_f64 v[44:45], v[52:53], v[84:85], v[8:9]
	buffer_store_dword v84, off, s[36:39], 0 offset:40 ; 4-byte Folded Spill
	s_nop 0
	buffer_store_dword v85, off, s[36:39], 0 offset:44 ; 4-byte Folded Spill
	buffer_store_dword v86, off, s[36:39], 0 offset:48 ; 4-byte Folded Spill
	;; [unrolled: 1-line block ×3, first 2 shown]
	v_mul_f64 v[8:9], v[66:67], v[22:23]
	v_fma_f64 v[48:49], v[56:57], v[12:13], v[76:77]
	v_fma_f64 v[50:51], v[58:59], v[12:13], -v[78:79]
	s_waitcnt vmcnt(14)
	v_mul_f64 v[76:77], v[70:71], v[26:27]
	v_mul_f64 v[78:79], v[68:69], v[26:27]
	s_waitcnt vmcnt(12)
	v_mul_f64 v[82:83], v[72:73], v[30:31]
	v_fma_f64 v[52:53], v[60:61], v[32:33], v[4:5]
	v_fma_f64 v[56:57], v[64:65], v[20:21], v[8:9]
	;; [unrolled: 1-line block ×3, first 2 shown]
	v_fma_f64 v[2:3], v[46:47], v[80:81], -v[2:3]
	v_mul_f64 v[80:81], v[74:75], v[30:31]
	v_fma_f64 v[46:47], v[54:55], v[84:85], -v[10:11]
	v_mul_f64 v[10:11], v[64:65], v[22:23]
	v_fma_f64 v[54:55], v[62:63], v[32:33], -v[6:7]
	v_fma_f64 v[62:63], v[70:71], v[24:25], -v[78:79]
	v_fma_f64 v[64:65], v[72:73], v[28:29], v[80:81]
	v_fma_f64 v[58:59], v[66:67], v[20:21], -v[10:11]
	v_fma_f64 v[66:67], v[74:75], v[28:29], -v[82:83]
	ds_write_b128 v251, v[0:3] offset:2800
	ds_write_b128 v251, v[40:43] offset:16800
	;; [unrolled: 1-line block ×8, first 2 shown]
	s_waitcnt vmcnt(0) lgkmcnt(0)
	s_barrier
	ds_read_b128 v[40:43], v251 offset:14000
	ds_read_b128 v[44:47], v251
	ds_read_b128 v[48:51], v251 offset:2800
	ds_read_b128 v[52:55], v251 offset:11200
	ds_read_b128 v[56:59], v251 offset:16800
	ds_read_b128 v[60:63], v251 offset:19600
	ds_read_b128 v[64:67], v251 offset:5600
	ds_read_b128 v[68:71], v251 offset:8400
	ds_read_b128 v[72:75], v251 offset:22400
	ds_read_b128 v[76:79], v251 offset:25200
	v_lshlrev_b16_e32 v1, 1, v252
	s_waitcnt lgkmcnt(3)
	v_add_f64 v[60:61], v[64:65], -v[60:61]
	v_add_f64 v[40:41], v[44:45], -v[40:41]
	;; [unrolled: 1-line block ×6, first 2 shown]
	s_waitcnt lgkmcnt(1)
	v_add_f64 v[72:73], v[68:69], -v[72:73]
	v_add_f64 v[74:75], v[70:71], -v[74:75]
	s_waitcnt lgkmcnt(0)
	v_add_f64 v[76:77], v[52:53], -v[76:77]
	v_add_f64 v[78:79], v[54:55], -v[78:79]
	v_fma_f64 v[44:45], v[44:45], 2.0, -v[40:41]
	v_fma_f64 v[46:47], v[46:47], 2.0, -v[42:43]
	;; [unrolled: 1-line block ×10, first 2 shown]
	v_lshlrev_b32_e32 v1, 4, v1
	s_barrier
	ds_write_b128 v1, v[44:47]
	buffer_store_dword v1, off, s[36:39], 0 offset:72 ; 4-byte Folded Spill
	ds_write_b128 v1, v[40:43] offset:16
	v_lshlrev_b32_e32 v1, 5, v204
	v_lshlrev_b32_e32 v0, 5, v252
	ds_write_b128 v1, v[48:51]
	buffer_store_dword v1, off, s[36:39], 0 offset:76 ; 4-byte Folded Spill
	ds_write_b128 v1, v[56:59] offset:16
	ds_write_b128 v0, v[64:67] offset:11200
	;; [unrolled: 1-line block ×7, first 2 shown]
	v_and_b32_e32 v1, 1, v252
	v_lshlrev_b32_e32 v2, 6, v1
	s_waitcnt vmcnt(0) lgkmcnt(0)
	s_barrier
	global_load_dwordx4 v[148:151], v2, s[14:15]
	global_load_dwordx4 v[140:143], v2, s[14:15] offset:16
	global_load_dwordx4 v[124:127], v2, s[14:15] offset:32
	;; [unrolled: 1-line block ×3, first 2 shown]
	v_and_b32_e32 v2, 1, v204
	v_lshlrev_b32_e32 v3, 6, v2
	global_load_dwordx4 v[144:147], v3, s[14:15]
	global_load_dwordx4 v[136:139], v3, s[14:15] offset:16
	global_load_dwordx4 v[132:135], v3, s[14:15] offset:32
	;; [unrolled: 1-line block ×3, first 2 shown]
	ds_read_b128 v[40:43], v251 offset:5600
	ds_read_b128 v[44:47], v251 offset:8400
	;; [unrolled: 1-line block ×7, first 2 shown]
	s_waitcnt vmcnt(7) lgkmcnt(6)
	v_mul_f64 v[3:4], v[42:43], v[150:151]
	s_waitcnt vmcnt(6) lgkmcnt(4)
	v_mul_f64 v[9:10], v[48:49], v[142:143]
	v_mul_f64 v[5:6], v[40:41], v[150:151]
	v_mul_f64 v[7:8], v[50:51], v[142:143]
	s_waitcnt vmcnt(5) lgkmcnt(2)
	v_mul_f64 v[70:71], v[56:57], v[126:127]
	v_mul_f64 v[68:69], v[58:59], v[126:127]
	s_waitcnt vmcnt(4) lgkmcnt(0)
	v_mul_f64 v[72:73], v[66:67], v[122:123]
	s_waitcnt vmcnt(1)
	v_mul_f64 v[74:75], v[60:61], v[134:135]
	v_fma_f64 v[3:4], v[40:41], v[148:149], -v[3:4]
	v_fma_f64 v[9:10], v[50:51], v[140:141], v[9:10]
	v_mul_f64 v[50:51], v[46:47], v[146:147]
	v_fma_f64 v[5:6], v[42:43], v[148:149], v[5:6]
	ds_read_b128 v[40:43], v251 offset:25200
	v_fma_f64 v[7:8], v[48:49], v[140:141], -v[7:8]
	v_mul_f64 v[48:49], v[64:65], v[122:123]
	v_fma_f64 v[58:59], v[58:59], v[124:125], v[70:71]
	v_fma_f64 v[56:57], v[56:57], v[124:125], -v[68:69]
	v_mul_f64 v[68:69], v[44:45], v[146:147]
	v_fma_f64 v[76:77], v[44:45], v[144:145], -v[50:51]
	s_waitcnt vmcnt(0) lgkmcnt(0)
	v_mul_f64 v[50:51], v[40:41], v[130:131]
	v_mul_f64 v[44:45], v[42:43], v[130:131]
	v_fma_f64 v[64:65], v[64:65], v[120:121], -v[72:73]
	v_fma_f64 v[66:67], v[66:67], v[120:121], v[48:49]
	v_mul_f64 v[48:49], v[62:63], v[134:135]
	v_mul_f64 v[70:71], v[54:55], v[138:139]
	v_fma_f64 v[68:69], v[46:47], v[144:145], v[68:69]
	v_mul_f64 v[72:73], v[52:53], v[138:139]
	v_fma_f64 v[82:83], v[42:43], v[128:129], v[50:51]
	v_add_f64 v[50:51], v[9:10], v[58:59]
	v_fma_f64 v[80:81], v[40:41], v[128:129], -v[44:45]
	ds_read_b128 v[44:47], v251
	ds_read_b128 v[40:43], v251 offset:2800
	v_fma_f64 v[78:79], v[60:61], v[132:133], -v[48:49]
	v_fma_f64 v[74:75], v[62:63], v[132:133], v[74:75]
	v_add_f64 v[48:49], v[7:8], v[56:57]
	v_add_f64 v[62:63], v[5:6], -v[9:10]
	v_add_f64 v[84:85], v[66:67], -v[58:59]
	s_waitcnt lgkmcnt(1)
	v_fma_f64 v[50:51], v[50:51], -0.5, v[46:47]
	v_add_f64 v[86:87], v[3:4], -v[64:65]
	v_fma_f64 v[70:71], v[52:53], v[136:137], -v[70:71]
	v_fma_f64 v[72:73], v[54:55], v[136:137], v[72:73]
	v_add_f64 v[52:53], v[3:4], -v[7:8]
	v_add_f64 v[54:55], v[64:65], -v[56:57]
	v_fma_f64 v[48:49], v[48:49], -0.5, v[44:45]
	v_add_f64 v[60:61], v[5:6], -v[66:67]
	v_add_f64 v[62:63], v[62:63], v[84:85]
	v_fma_f64 v[84:85], v[86:87], s[18:19], v[50:51]
	v_add_f64 v[90:91], v[7:8], -v[56:57]
	v_add_f64 v[92:93], v[44:45], v[3:4]
	v_add_f64 v[88:89], v[9:10], -v[58:59]
	v_add_f64 v[52:53], v[52:53], v[54:55]
	v_fma_f64 v[50:51], v[86:87], s[16:17], v[50:51]
	v_fma_f64 v[54:55], v[60:61], s[16:17], v[48:49]
	v_add_f64 v[96:97], v[3:4], v[64:65]
	v_fma_f64 v[48:49], v[60:61], s[18:19], v[48:49]
	v_fma_f64 v[84:85], v[90:91], s[6:7], v[84:85]
	v_add_f64 v[92:93], v[92:93], v[7:8]
	v_add_f64 v[94:95], v[46:47], v[5:6]
	;; [unrolled: 1-line block ×3, first 2 shown]
	v_fma_f64 v[100:101], v[90:91], s[0:1], v[50:51]
	v_fma_f64 v[54:55], v[88:89], s[0:1], v[54:55]
	v_fma_f64 v[44:45], v[96:97], -0.5, v[44:45]
	v_fma_f64 v[98:99], v[88:89], s[6:7], v[48:49]
	v_fma_f64 v[50:51], v[62:63], s[2:3], v[84:85]
	v_add_f64 v[84:85], v[92:93], v[56:57]
	v_add_f64 v[94:95], v[94:95], v[9:10]
	v_add_f64 v[3:4], v[7:8], -v[3:4]
	v_add_f64 v[56:57], v[56:57], -v[64:65]
	v_fma_f64 v[48:49], v[52:53], s[2:3], v[54:55]
	v_fma_f64 v[54:55], v[62:63], s[2:3], v[100:101]
	v_fma_f64 v[62:63], v[102:103], -0.5, v[46:47]
	v_fma_f64 v[7:8], v[88:89], s[18:19], v[44:45]
	v_fma_f64 v[88:89], v[88:89], s[16:17], v[44:45]
	v_add_f64 v[44:45], v[84:85], v[64:65]
	v_add_f64 v[64:65], v[70:71], v[78:79]
	;; [unrolled: 1-line block ×3, first 2 shown]
	v_add_f64 v[5:6], v[9:10], -v[5:6]
	v_add_f64 v[9:10], v[58:59], -v[66:67]
	v_fma_f64 v[58:59], v[90:91], s[16:17], v[62:63]
	v_fma_f64 v[62:63], v[90:91], s[18:19], v[62:63]
	v_add_f64 v[3:4], v[3:4], v[56:57]
	v_add_f64 v[56:57], v[72:73], v[74:75]
	v_fma_f64 v[7:8], v[60:61], s[0:1], v[7:8]
	s_waitcnt lgkmcnt(0)
	v_fma_f64 v[64:65], v[64:65], -0.5, v[40:41]
	v_add_f64 v[84:85], v[68:69], -v[82:83]
	v_add_f64 v[46:47], v[92:93], v[66:67]
	v_fma_f64 v[60:61], v[60:61], s[6:7], v[88:89]
	v_add_f64 v[5:6], v[5:6], v[9:10]
	v_fma_f64 v[9:10], v[86:87], s[6:7], v[58:59]
	v_fma_f64 v[62:63], v[86:87], s[0:1], v[62:63]
	v_fma_f64 v[66:67], v[56:57], -0.5, v[42:43]
	v_add_f64 v[86:87], v[76:77], -v[80:81]
	v_fma_f64 v[56:57], v[3:4], s[2:3], v[7:8]
	v_add_f64 v[7:8], v[76:77], -v[70:71]
	v_add_f64 v[88:89], v[80:81], -v[78:79]
	v_fma_f64 v[92:93], v[84:85], s[16:17], v[64:65]
	v_add_f64 v[94:95], v[72:73], -v[74:75]
	v_add_f64 v[90:91], v[68:69], -v[72:73]
	;; [unrolled: 1-line block ×3, first 2 shown]
	v_fma_f64 v[52:53], v[52:53], s[2:3], v[98:99]
	v_fma_f64 v[98:99], v[86:87], s[18:19], v[66:67]
	v_add_f64 v[100:101], v[70:71], -v[78:79]
	v_fma_f64 v[58:59], v[5:6], s[2:3], v[9:10]
	v_fma_f64 v[60:61], v[3:4], s[2:3], v[60:61]
	;; [unrolled: 1-line block ×3, first 2 shown]
	v_add_f64 v[3:4], v[7:8], v[88:89]
	v_fma_f64 v[5:6], v[94:95], s[0:1], v[92:93]
	v_add_f64 v[7:8], v[76:77], v[80:81]
	v_add_f64 v[9:10], v[90:91], v[96:97]
	;; [unrolled: 1-line block ×3, first 2 shown]
	v_fma_f64 v[88:89], v[100:101], s[6:7], v[98:99]
	v_fma_f64 v[90:91], v[84:85], s[18:19], v[64:65]
	v_add_f64 v[98:99], v[40:41], v[76:77]
	v_fma_f64 v[92:93], v[86:87], s[16:17], v[66:67]
	v_fma_f64 v[64:65], v[3:4], s[2:3], v[5:6]
	v_fma_f64 v[5:6], v[7:8], -0.5, v[40:41]
	v_add_f64 v[7:8], v[42:43], v[68:69]
	v_fma_f64 v[42:43], v[96:97], -0.5, v[42:43]
	v_fma_f64 v[66:67], v[9:10], s[2:3], v[88:89]
	v_fma_f64 v[40:41], v[94:95], s[6:7], v[90:91]
	v_add_f64 v[90:91], v[98:99], v[70:71]
	v_fma_f64 v[88:89], v[100:101], s[0:1], v[92:93]
	v_add_f64 v[70:71], v[70:71], -v[76:77]
	v_fma_f64 v[76:77], v[94:95], s[18:19], v[5:6]
	v_add_f64 v[7:8], v[7:8], v[72:73]
	v_add_f64 v[92:93], v[78:79], -v[80:81]
	v_add_f64 v[68:69], v[72:73], -v[68:69]
	;; [unrolled: 1-line block ×3, first 2 shown]
	v_fma_f64 v[96:97], v[100:101], s[16:17], v[42:43]
	v_fma_f64 v[5:6], v[94:95], s[16:17], v[5:6]
	;; [unrolled: 1-line block ×3, first 2 shown]
	v_add_f64 v[78:79], v[90:91], v[78:79]
	v_add_f64 v[7:8], v[7:8], v[74:75]
	;; [unrolled: 1-line block ×3, first 2 shown]
	v_fma_f64 v[74:75], v[84:85], s[0:1], v[76:77]
	v_add_f64 v[92:93], v[68:69], v[72:73]
	v_fma_f64 v[76:77], v[86:87], s[6:7], v[96:97]
	v_fma_f64 v[5:6], v[84:85], s[6:7], v[5:6]
	;; [unrolled: 1-line block ×4, first 2 shown]
	v_lshrrev_b32_e32 v3, 1, v252
	v_mul_u32_u24_e32 v3, 10, v3
	v_or_b32_e32 v1, v3, v1
	v_lshlrev_b32_e32 v254, 4, v1
	v_lshrrev_b32_e32 v1, 1, v204
	v_add_f64 v[68:69], v[78:79], v[80:81]
	v_add_f64 v[70:71], v[7:8], v[82:83]
	v_mul_u32_u24_e32 v1, 10, v1
	v_or_b32_e32 v1, v1, v2
	v_fma_f64 v[72:73], v[90:91], s[2:3], v[74:75]
	v_fma_f64 v[74:75], v[92:93], s[2:3], v[76:77]
	v_lshlrev_b32_e32 v226, 4, v1
	v_mul_lo_u16_sdwa v1, v252, s20 dst_sel:DWORD dst_unused:UNUSED_PAD src0_sel:BYTE_0 src1_sel:DWORD
	v_fma_f64 v[76:77], v[90:91], s[2:3], v[5:6]
	v_fma_f64 v[78:79], v[92:93], s[2:3], v[84:85]
	v_lshrrev_b16_e32 v1, 11, v1
	v_fma_f64 v[42:43], v[9:10], s[2:3], v[88:89]
	v_mul_lo_u16_e32 v2, 10, v1
	v_sub_u16_e32 v2, v252, v2
	v_and_b32_e32 v2, 0xff, v2
	v_lshlrev_b32_e32 v3, 6, v2
	s_barrier
	ds_write_b128 v254, v[44:47]
	ds_write_b128 v254, v[48:51] offset:32
	ds_write_b128 v254, v[56:59] offset:64
	;; [unrolled: 1-line block ×4, first 2 shown]
	ds_write_b128 v226, v[68:71]
	ds_write_b128 v226, v[64:67] offset:32
	ds_write_b128 v226, v[72:75] offset:64
	;; [unrolled: 1-line block ×4, first 2 shown]
	s_waitcnt lgkmcnt(0)
	s_barrier
	global_load_dwordx4 v[100:103], v3, s[14:15] offset:128
	global_load_dwordx4 v[92:95], v3, s[14:15] offset:144
	;; [unrolled: 1-line block ×4, first 2 shown]
	s_mov_b32 s20, 0xcccd
	v_mul_u32_u24_sdwa v3, v204, s20 dst_sel:DWORD dst_unused:UNUSED_PAD src0_sel:WORD_0 src1_sel:DWORD
	v_lshrrev_b32_e32 v11, 19, v3
	v_mul_lo_u16_e32 v3, 10, v11
	v_sub_u16_e32 v168, v204, v3
	v_lshlrev_b16_e32 v3, 6, v168
	v_mov_b32_e32 v4, s15
	v_add_co_u32_e32 v3, vcc, s14, v3
	v_addc_co_u32_e32 v4, vcc, 0, v4, vcc
	global_load_dwordx4 v[104:107], v[3:4], off offset:128
	global_load_dwordx4 v[108:111], v[3:4], off offset:144
	;; [unrolled: 1-line block ×4, first 2 shown]
	ds_read_b128 v[40:43], v251 offset:5600
	ds_read_b128 v[44:47], v251 offset:8400
	;; [unrolled: 1-line block ×6, first 2 shown]
	v_mul_u32_u24_e32 v1, 50, v1
	v_add_lshl_u32 v1, v1, v2, 4
	s_waitcnt vmcnt(7) lgkmcnt(5)
	v_mul_f64 v[3:4], v[42:43], v[102:103]
	v_mul_f64 v[5:6], v[40:41], v[102:103]
	s_waitcnt vmcnt(6) lgkmcnt(3)
	v_mul_f64 v[7:8], v[50:51], v[94:95]
	v_mul_f64 v[9:10], v[48:49], v[94:95]
	;; [unrolled: 3-line block ×3, first 2 shown]
	v_fma_f64 v[3:4], v[40:41], v[100:101], -v[3:4]
	v_fma_f64 v[5:6], v[42:43], v[100:101], v[5:6]
	ds_read_b128 v[40:43], v251 offset:22400
	v_fma_f64 v[7:8], v[48:49], v[92:93], -v[7:8]
	v_fma_f64 v[9:10], v[50:51], v[92:93], v[9:10]
	v_fma_f64 v[64:65], v[52:53], v[88:89], -v[64:65]
	v_fma_f64 v[66:67], v[54:55], v[88:89], v[66:67]
	s_waitcnt vmcnt(4) lgkmcnt(0)
	v_mul_f64 v[52:53], v[42:43], v[98:99]
	v_mul_f64 v[54:55], v[40:41], v[98:99]
	s_waitcnt vmcnt(2)
	v_mul_f64 v[72:73], v[58:59], v[110:111]
	v_mul_f64 v[74:75], v[56:57], v[110:111]
	s_waitcnt vmcnt(1)
	v_mul_f64 v[76:77], v[62:63], v[114:115]
	v_mul_f64 v[78:79], v[60:61], v[114:115]
	ds_read_b128 v[48:51], v251 offset:25200
	v_mul_f64 v[68:69], v[46:47], v[106:107]
	v_mul_f64 v[70:71], v[44:45], v[106:107]
	v_fma_f64 v[80:81], v[40:41], v[96:97], -v[52:53]
	v_fma_f64 v[82:83], v[42:43], v[96:97], v[54:55]
	v_fma_f64 v[56:57], v[56:57], v[108:109], -v[72:73]
	v_fma_f64 v[58:59], v[58:59], v[108:109], v[74:75]
	;; [unrolled: 2-line block ×3, first 2 shown]
	v_add_f64 v[52:53], v[7:8], v[64:65]
	s_waitcnt vmcnt(0) lgkmcnt(0)
	v_mul_f64 v[54:55], v[50:51], v[118:119]
	v_add_f64 v[60:61], v[9:10], v[66:67]
	v_mul_f64 v[62:63], v[48:49], v[118:119]
	ds_read_b128 v[40:43], v251
	v_fma_f64 v[84:85], v[44:45], v[104:105], -v[68:69]
	v_fma_f64 v[86:87], v[46:47], v[104:105], v[70:71]
	ds_read_b128 v[44:47], v251 offset:2800
	v_add_f64 v[68:69], v[3:4], -v[7:8]
	v_add_f64 v[70:71], v[80:81], -v[64:65]
	s_waitcnt lgkmcnt(1)
	v_fma_f64 v[52:53], v[52:53], -0.5, v[40:41]
	v_add_f64 v[76:77], v[5:6], -v[82:83]
	v_fma_f64 v[60:61], v[60:61], -0.5, v[42:43]
	v_add_f64 v[78:79], v[3:4], -v[80:81]
	v_fma_f64 v[152:153], v[48:49], v[116:117], -v[54:55]
	v_fma_f64 v[154:155], v[50:51], v[116:117], v[62:63]
	v_add_f64 v[48:49], v[5:6], -v[9:10]
	v_add_f64 v[50:51], v[82:83], -v[66:67]
	v_add_f64 v[54:55], v[68:69], v[70:71]
	v_fma_f64 v[62:63], v[76:77], s[16:17], v[52:53]
	v_add_f64 v[68:69], v[9:10], -v[66:67]
	v_fma_f64 v[70:71], v[78:79], s[18:19], v[60:61]
	v_add_f64 v[156:157], v[7:8], -v[64:65]
	v_fma_f64 v[52:53], v[76:77], s[18:19], v[52:53]
	v_add_f64 v[158:159], v[40:41], v[3:4]
	v_add_f64 v[160:161], v[42:43], v[5:6]
	v_fma_f64 v[60:61], v[78:79], s[16:17], v[60:61]
	v_add_f64 v[162:163], v[48:49], v[50:51]
	v_add_f64 v[50:51], v[3:4], v[80:81]
	v_fma_f64 v[48:49], v[68:69], s[0:1], v[62:63]
	v_fma_f64 v[62:63], v[156:157], s[6:7], v[70:71]
	;; [unrolled: 1-line block ×3, first 2 shown]
	v_add_f64 v[70:71], v[158:159], v[7:8]
	v_add_f64 v[158:159], v[160:161], v[9:10]
	v_fma_f64 v[60:61], v[156:157], s[0:1], v[60:61]
	v_add_f64 v[160:161], v[5:6], v[82:83]
	v_fma_f64 v[40:41], v[50:51], -0.5, v[40:41]
	v_fma_f64 v[48:49], v[54:55], s[2:3], v[48:49]
	v_fma_f64 v[50:51], v[162:163], s[2:3], v[62:63]
	;; [unrolled: 1-line block ×3, first 2 shown]
	v_add_f64 v[62:63], v[70:71], v[64:65]
	v_add_f64 v[70:71], v[158:159], v[66:67]
	v_fma_f64 v[54:55], v[162:163], s[2:3], v[60:61]
	v_fma_f64 v[60:61], v[160:161], -0.5, v[42:43]
	v_add_f64 v[3:4], v[7:8], -v[3:4]
	v_fma_f64 v[7:8], v[68:69], s[18:19], v[40:41]
	v_fma_f64 v[68:69], v[68:69], s[16:17], v[40:41]
	v_add_f64 v[64:65], v[64:65], -v[80:81]
	v_add_f64 v[5:6], v[9:10], -v[5:6]
	;; [unrolled: 1-line block ×3, first 2 shown]
	v_add_f64 v[66:67], v[56:57], v[72:73]
	v_add_f64 v[40:41], v[62:63], v[80:81]
	;; [unrolled: 1-line block ×3, first 2 shown]
	v_fma_f64 v[62:63], v[156:157], s[16:17], v[60:61]
	v_fma_f64 v[60:61], v[156:157], s[18:19], v[60:61]
	v_add_f64 v[3:4], v[3:4], v[64:65]
	v_add_f64 v[64:65], v[58:59], v[74:75]
	v_fma_f64 v[7:8], v[76:77], s[0:1], v[7:8]
	v_fma_f64 v[68:69], v[76:77], s[6:7], v[68:69]
	s_waitcnt lgkmcnt(0)
	v_fma_f64 v[70:71], v[66:67], -0.5, v[44:45]
	v_add_f64 v[76:77], v[86:87], -v[154:155]
	v_add_f64 v[5:6], v[5:6], v[9:10]
	v_fma_f64 v[9:10], v[78:79], s[6:7], v[62:63]
	v_fma_f64 v[66:67], v[78:79], s[0:1], v[60:61]
	v_fma_f64 v[78:79], v[64:65], -0.5, v[46:47]
	v_add_f64 v[80:81], v[84:85], -v[152:153]
	v_fma_f64 v[60:61], v[3:4], s[2:3], v[7:8]
	v_add_f64 v[7:8], v[84:85], -v[56:57]
	v_add_f64 v[82:83], v[152:153], -v[72:73]
	v_fma_f64 v[158:159], v[76:77], s[16:17], v[70:71]
	v_add_f64 v[160:161], v[58:59], -v[74:75]
	v_add_f64 v[156:157], v[86:87], -v[58:59]
	;; [unrolled: 1-line block ×3, first 2 shown]
	v_fma_f64 v[164:165], v[80:81], s[18:19], v[78:79]
	v_add_f64 v[166:167], v[56:57], -v[72:73]
	v_fma_f64 v[62:63], v[5:6], s[2:3], v[9:10]
	v_fma_f64 v[64:65], v[3:4], s[2:3], v[68:69]
	;; [unrolled: 1-line block ×3, first 2 shown]
	v_add_f64 v[3:4], v[7:8], v[82:83]
	v_fma_f64 v[5:6], v[160:161], s[0:1], v[158:159]
	v_add_f64 v[7:8], v[84:85], v[152:153]
	v_add_f64 v[158:159], v[86:87], v[154:155]
	;; [unrolled: 1-line block ×3, first 2 shown]
	v_fma_f64 v[82:83], v[166:167], s[6:7], v[164:165]
	v_fma_f64 v[156:157], v[76:77], s[18:19], v[70:71]
	v_add_f64 v[162:163], v[44:45], v[84:85]
	v_fma_f64 v[78:79], v[80:81], s[16:17], v[78:79]
	v_fma_f64 v[68:69], v[3:4], s[2:3], v[5:6]
	v_fma_f64 v[5:6], v[7:8], -0.5, v[44:45]
	v_add_f64 v[7:8], v[46:47], v[86:87]
	v_fma_f64 v[46:47], v[158:159], -0.5, v[46:47]
	v_fma_f64 v[70:71], v[9:10], s[2:3], v[82:83]
	v_fma_f64 v[44:45], v[160:161], s[6:7], v[156:157]
	v_add_f64 v[82:83], v[162:163], v[56:57]
	v_add_f64 v[56:57], v[56:57], -v[84:85]
	v_add_f64 v[156:157], v[72:73], -v[152:153]
	v_fma_f64 v[84:85], v[160:161], s[18:19], v[5:6]
	v_add_f64 v[7:8], v[7:8], v[58:59]
	v_add_f64 v[58:59], v[58:59], -v[86:87]
	v_add_f64 v[86:87], v[74:75], -v[154:155]
	v_fma_f64 v[158:159], v[166:167], s[16:17], v[46:47]
	v_fma_f64 v[5:6], v[160:161], s[16:17], v[5:6]
	;; [unrolled: 1-line block ×4, first 2 shown]
	v_add_f64 v[72:73], v[82:83], v[72:73]
	v_add_f64 v[7:8], v[7:8], v[74:75]
	;; [unrolled: 1-line block ×3, first 2 shown]
	v_fma_f64 v[74:75], v[76:77], s[0:1], v[84:85]
	v_add_f64 v[58:59], v[58:59], v[86:87]
	v_fma_f64 v[82:83], v[80:81], s[6:7], v[158:159]
	v_fma_f64 v[5:6], v[76:77], s[6:7], v[5:6]
	;; [unrolled: 1-line block ×5, first 2 shown]
	v_add_f64 v[44:45], v[72:73], v[152:153]
	v_add_f64 v[46:47], v[7:8], v[154:155]
	v_fma_f64 v[152:153], v[56:57], s[2:3], v[74:75]
	v_fma_f64 v[154:155], v[58:59], s[2:3], v[82:83]
	;; [unrolled: 1-line block ×4, first 2 shown]
	s_barrier
	ds_write_b128 v1, v[40:43]
	ds_write_b128 v1, v[48:51] offset:160
	ds_write_b128 v1, v[60:63] offset:320
	;; [unrolled: 1-line block ×3, first 2 shown]
	buffer_store_dword v1, off, s[36:39], 0 offset:64 ; 4-byte Folded Spill
	ds_write_b128 v1, v[52:55] offset:640
	v_mad_legacy_u16 v1, v11, 50, v168
	v_lshlrev_b32_e32 v1, 4, v1
	ds_write_b128 v1, v[44:47]
	ds_write_b128 v1, v[68:71] offset:160
	ds_write_b128 v1, v[152:155] offset:320
	;; [unrolled: 1-line block ×3, first 2 shown]
	buffer_store_dword v1, off, s[36:39], 0 offset:68 ; 4-byte Folded Spill
	ds_write_b128 v1, v[84:87] offset:640
	s_waitcnt vmcnt(0) lgkmcnt(0)
	s_barrier
	ds_read_b128 v[156:159], v251
	ds_read_b128 v[80:83], v251 offset:4000
	ds_read_b128 v[76:79], v251 offset:8000
	;; [unrolled: 1-line block ×6, first 2 shown]
	s_load_dwordx2 s[2:3], s[4:5], 0x38
	s_movk_i32 s0, 0x4b
	v_cmp_gt_u16_e32 vcc, s0, v252
                                        ; implicit-def: $vgpr168_vgpr169
                                        ; implicit-def: $vgpr160_vgpr161
                                        ; implicit-def: $vgpr164_vgpr165
	s_and_saveexec_b64 s[0:1], vcc
	s_cbranch_execz .LBB0_3
; %bb.2:
	ds_read_b128 v[152:155], v251 offset:2800
	ds_read_b128 v[56:59], v251 offset:6800
	;; [unrolled: 1-line block ×7, first 2 shown]
.LBB0_3:
	s_or_b64 exec, exec, s[0:1]
	v_add_u32_e32 v1, 0x2bc0, v0
	buffer_store_dword v1, off, s[36:39], 0 offset:88 ; 4-byte Folded Spill
	v_add_u32_e32 v1, 0x41a0, v0
	v_add_u32_e32 v0, 0x5780, v0
	buffer_store_dword v0, off, s[36:39], 0 offset:80 ; 4-byte Folded Spill
	v_mov_b32_e32 v0, 41
	v_mul_lo_u16_sdwa v0, v252, v0 dst_sel:DWORD dst_unused:UNUSED_PAD src0_sel:BYTE_0 src1_sel:DWORD
	v_lshrrev_b16_e32 v0, 11, v0
	buffer_store_dword v1, off, s[36:39], 0 offset:84 ; 4-byte Folded Spill
	v_mul_lo_u16_e32 v1, 50, v0
	v_sub_u16_e32 v1, v252, v1
	v_mov_b32_e32 v2, s14
	v_and_b32_e32 v1, 0xff, v1
	s_movk_i32 s0, 0x60
	v_mov_b32_e32 v3, s15
	v_mad_u64_u32 v[2:3], s[0:1], v1, s0, v[2:3]
	global_load_dwordx4 v[60:63], v[2:3], off offset:816
	global_load_dwordx4 v[64:67], v[2:3], off offset:800
	;; [unrolled: 1-line block ×4, first 2 shown]
	s_mov_b32 s4, 0x36b3c0b5
	s_mov_b32 s16, 0xe976ee23
	;; [unrolled: 1-line block ×18, first 2 shown]
	v_mul_u32_u24_e32 v0, 0x15e, v0
	v_add_lshl_u32 v255, v0, v1, 4
	s_waitcnt vmcnt(1) lgkmcnt(0)
	v_mul_f64 v[8:9], v[78:79], v[70:71]
	s_waitcnt vmcnt(0)
	v_mul_f64 v[4:5], v[82:83], v[74:75]
	v_mul_f64 v[6:7], v[80:81], v[74:75]
	;; [unrolled: 1-line block ×3, first 2 shown]
	v_fma_f64 v[8:9], v[76:77], v[68:69], -v[8:9]
	v_mul_f64 v[76:77], v[54:55], v[66:67]
	v_fma_f64 v[4:5], v[80:81], v[72:73], -v[4:5]
	v_fma_f64 v[6:7], v[82:83], v[72:73], v[6:7]
	v_fma_f64 v[10:11], v[78:79], v[68:69], v[10:11]
	v_fma_f64 v[186:187], v[52:53], v[64:65], -v[76:77]
	global_load_dwordx4 v[80:83], v[2:3], off offset:848
	global_load_dwordx4 v[76:79], v[2:3], off offset:832
	v_mul_f64 v[52:53], v[52:53], v[66:67]
	v_fma_f64 v[188:189], v[54:55], v[64:65], v[52:53]
	v_mul_f64 v[52:53], v[50:51], v[62:63]
	v_fma_f64 v[190:191], v[48:49], v[60:61], -v[52:53]
	v_mul_f64 v[48:49], v[48:49], v[62:63]
	v_fma_f64 v[192:193], v[50:51], v[60:61], v[48:49]
	v_add_f64 v[205:206], v[188:189], v[192:193]
	s_waitcnt vmcnt(0)
	v_mul_f64 v[2:3], v[46:47], v[78:79]
	v_fma_f64 v[2:3], v[44:45], v[76:77], -v[2:3]
	v_mul_f64 v[44:45], v[44:45], v[78:79]
	v_fma_f64 v[194:195], v[46:47], v[76:77], v[44:45]
	v_mul_f64 v[44:45], v[42:43], v[82:83]
	v_fma_f64 v[196:197], v[40:41], v[80:81], -v[44:45]
	v_mul_f64 v[40:41], v[40:41], v[82:83]
	v_fma_f64 v[198:199], v[42:43], v[80:81], v[40:41]
	v_lshrrev_b16_e32 v40, 1, v204
	v_mul_u32_u24_e32 v40, 0x147b, v40
	v_lshrrev_b32_e32 v40, 17, v40
	buffer_store_dword v40, off, s[36:39], 0 offset:56 ; 4-byte Folded Spill
	v_mul_lo_u16_e32 v40, 50, v40
	v_sub_u16_e32 v40, v204, v40
	buffer_store_dword v40, off, s[36:39], 0 offset:60 ; 4-byte Folded Spill
	v_mul_lo_u16_e32 v40, 0x60, v40
	v_add_co_u32_e64 v200, s[0:1], s14, v40
	v_mov_b32_e32 v40, s15
	v_addc_co_u32_e64 v201, s[0:1], 0, v40, s[0:1]
	global_load_dwordx4 v[40:43], v[200:201], off offset:816
	global_load_dwordx4 v[44:47], v[200:201], off offset:800
	;; [unrolled: 1-line block ×4, first 2 shown]
	s_mov_b32 s0, 0x37e14327
	s_mov_b32 s1, 0x3fe948f6
	s_waitcnt vmcnt(0)
	v_mul_f64 v[176:177], v[58:59], v[54:55]
	v_fma_f64 v[176:177], v[56:57], v[52:53], -v[176:177]
	v_mul_f64 v[56:57], v[56:57], v[54:55]
	v_fma_f64 v[182:183], v[58:59], v[52:53], v[56:57]
	v_mul_f64 v[56:57], v[86:87], v[50:51]
	v_fma_f64 v[178:179], v[84:85], v[48:49], -v[56:57]
	v_mul_f64 v[56:57], v[84:85], v[50:51]
	v_fma_f64 v[184:185], v[86:87], v[48:49], v[56:57]
	;; [unrolled: 4-line block ×4, first 2 shown]
	global_load_dwordx4 v[56:59], v[200:201], off offset:848
	global_load_dwordx4 v[84:87], v[200:201], off offset:832
	v_add_f64 v[200:201], v[6:7], v[198:199]
	v_add_f64 v[6:7], v[6:7], -v[198:199]
	v_add_f64 v[198:199], v[10:11], v[194:195]
	s_waitcnt vmcnt(0)
	s_barrier
	v_add_f64 v[213:214], v[200:201], -v[205:206]
	v_add_f64 v[209:210], v[198:199], v[200:201]
	v_add_f64 v[202:203], v[205:206], -v[198:199]
	v_mul_f64 v[174:175], v[162:163], v[86:87]
	v_fma_f64 v[174:175], v[160:161], v[84:85], -v[174:175]
	v_mul_f64 v[160:161], v[160:161], v[86:87]
	v_fma_f64 v[160:161], v[162:163], v[84:85], v[160:161]
	v_mul_f64 v[162:163], v[166:167], v[58:59]
	v_fma_f64 v[162:163], v[164:165], v[56:57], -v[162:163]
	v_mul_f64 v[164:165], v[164:165], v[58:59]
	v_fma_f64 v[164:165], v[166:167], v[56:57], v[164:165]
	v_add_f64 v[166:167], v[4:5], v[196:197]
	v_add_f64 v[4:5], v[4:5], -v[196:197]
	v_add_f64 v[196:197], v[8:9], v[2:3]
	v_add_f64 v[2:3], v[8:9], -v[2:3]
	v_add_f64 v[8:9], v[10:11], -v[194:195]
	v_add_f64 v[10:11], v[186:187], v[190:191]
	v_add_f64 v[186:187], v[190:191], -v[186:187]
	v_add_f64 v[190:191], v[192:193], -v[188:189]
	;; [unrolled: 1-line block ×3, first 2 shown]
	v_add_f64 v[207:208], v[196:197], v[166:167]
	v_add_f64 v[192:193], v[196:197], -v[166:167]
	v_add_f64 v[198:199], v[8:9], -v[6:7]
	;; [unrolled: 1-line block ×4, first 2 shown]
	v_add_f64 v[166:167], v[186:187], v[2:3]
	v_add_f64 v[215:216], v[190:191], v[8:9]
	v_add_f64 v[217:218], v[186:187], -v[2:3]
	v_add_f64 v[219:220], v[190:191], -v[8:9]
	;; [unrolled: 1-line block ×3, first 2 shown]
	v_add_f64 v[2:3], v[10:11], v[207:208]
	v_add_f64 v[8:9], v[205:206], v[209:210]
	v_add_f64 v[188:189], v[4:5], -v[186:187]
	v_add_f64 v[190:191], v[6:7], -v[190:191]
	v_add_f64 v[186:187], v[166:167], v[4:5]
	v_add_f64 v[166:167], v[215:216], v[6:7]
	v_mul_f64 v[4:5], v[211:212], s[0:1]
	v_mul_f64 v[6:7], v[213:214], s[0:1]
	v_add_f64 v[156:157], v[156:157], v[2:3]
	v_add_f64 v[158:159], v[158:159], v[8:9]
	v_mul_f64 v[10:11], v[200:201], s[4:5]
	v_mul_f64 v[205:206], v[202:203], s[4:5]
	;; [unrolled: 1-line block ×6, first 2 shown]
	v_fma_f64 v[2:3], v[2:3], s[18:19], v[156:157]
	v_fma_f64 v[8:9], v[8:9], s[18:19], v[158:159]
	;; [unrolled: 1-line block ×4, first 2 shown]
	v_fma_f64 v[10:11], v[192:193], s[22:23], -v[10:11]
	v_fma_f64 v[205:206], v[194:195], s[22:23], -v[205:206]
	;; [unrolled: 1-line block ×4, first 2 shown]
	v_fma_f64 v[192:193], v[188:189], s[28:29], v[207:208]
	v_fma_f64 v[194:195], v[190:191], s[28:29], v[209:210]
	v_fma_f64 v[196:197], v[196:197], s[6:7], -v[207:208]
	v_fma_f64 v[198:199], v[198:199], s[6:7], -v[209:210]
	;; [unrolled: 1-line block ×4, first 2 shown]
	v_add_f64 v[217:218], v[200:201], v[2:3]
	v_add_f64 v[219:220], v[202:203], v[8:9]
	;; [unrolled: 1-line block ×6, first 2 shown]
	v_fma_f64 v[6:7], v[186:187], s[20:21], v[192:193]
	v_fma_f64 v[8:9], v[166:167], s[20:21], v[194:195]
	;; [unrolled: 1-line block ×6, first 2 shown]
	v_add_f64 v[194:195], v[219:220], -v[6:7]
	v_add_f64 v[219:220], v[6:7], v[219:220]
	v_add_f64 v[6:7], v[176:177], -v[162:163]
	v_add_f64 v[205:206], v[10:11], -v[198:199]
	;; [unrolled: 1-line block ×3, first 2 shown]
	v_add_f64 v[200:201], v[166:167], v[2:3]
	v_add_f64 v[209:210], v[198:199], v[10:11]
	v_add_f64 v[213:214], v[2:3], -v[166:167]
	v_add_f64 v[215:216], v[186:187], v[4:5]
	v_add_f64 v[2:3], v[176:177], v[162:163]
	;; [unrolled: 1-line block ×6, first 2 shown]
	v_add_f64 v[217:218], v[217:218], -v[8:9]
	v_add_f64 v[8:9], v[182:183], -v[164:165]
	;; [unrolled: 1-line block ×4, first 2 shown]
	v_add_f64 v[166:167], v[180:181], v[170:171]
	v_add_f64 v[174:175], v[168:169], v[172:173]
	v_add_f64 v[170:171], v[170:171], -v[180:181]
	v_add_f64 v[168:169], v[172:173], -v[168:169]
	v_add_f64 v[172:173], v[10:11], v[2:3]
	v_add_f64 v[176:177], v[162:163], v[4:5]
	v_add_f64 v[178:179], v[10:11], -v[2:3]
	v_add_f64 v[180:181], v[162:163], -v[4:5]
	;; [unrolled: 1-line block ×6, first 2 shown]
	v_add_f64 v[182:183], v[170:171], v[164:165]
	v_add_f64 v[184:185], v[168:169], v[160:161]
	v_add_f64 v[186:187], v[170:171], -v[164:165]
	v_add_f64 v[188:189], v[168:169], -v[160:161]
	;; [unrolled: 1-line block ×4, first 2 shown]
	v_add_f64 v[166:167], v[166:167], v[172:173]
	v_add_f64 v[172:173], v[174:175], v[176:177]
	v_add_f64 v[170:171], v[6:7], -v[170:171]
	v_add_f64 v[168:169], v[8:9], -v[168:169]
	v_add_f64 v[6:7], v[182:183], v[6:7]
	v_add_f64 v[8:9], v[184:185], v[8:9]
	v_mul_f64 v[2:3], v[2:3], s[0:1]
	v_mul_f64 v[4:5], v[4:5], s[0:1]
	v_add_f64 v[152:153], v[152:153], v[166:167]
	v_add_f64 v[154:155], v[154:155], v[172:173]
	v_mul_f64 v[174:175], v[10:11], s[4:5]
	v_mul_f64 v[176:177], v[162:163], s[4:5]
	;; [unrolled: 1-line block ×6, first 2 shown]
	v_fma_f64 v[166:167], v[166:167], s[18:19], v[152:153]
	v_fma_f64 v[172:173], v[172:173], s[18:19], v[154:155]
	;; [unrolled: 1-line block ×4, first 2 shown]
	v_fma_f64 v[174:175], v[178:179], s[22:23], -v[174:175]
	v_fma_f64 v[176:177], v[180:181], s[22:23], -v[176:177]
	;; [unrolled: 1-line block ×4, first 2 shown]
	v_fma_f64 v[178:179], v[170:171], s[28:29], v[182:183]
	v_fma_f64 v[180:181], v[168:169], s[28:29], v[184:185]
	v_fma_f64 v[182:183], v[164:165], s[6:7], -v[182:183]
	v_fma_f64 v[184:185], v[160:161], s[6:7], -v[184:185]
	;; [unrolled: 1-line block ×4, first 2 shown]
	v_add_f64 v[160:161], v[10:11], v[166:167]
	v_add_f64 v[164:165], v[162:163], v[172:173]
	;; [unrolled: 1-line block ×6, first 2 shown]
	v_fma_f64 v[168:169], v[6:7], s[20:21], v[178:179]
	v_fma_f64 v[166:167], v[8:9], s[20:21], v[180:181]
	v_fma_f64 v[2:3], v[6:7], s[20:21], v[182:183]
	v_fma_f64 v[4:5], v[8:9], s[20:21], v[184:185]
	v_fma_f64 v[176:177], v[6:7], s[20:21], v[186:187]
	v_fma_f64 v[178:179], v[8:9], s[20:21], v[188:189]
	v_add_f64 v[207:208], v[196:197], v[211:212]
	v_add_f64 v[211:212], v[211:212], -v[196:197]
	v_add_f64 v[198:199], v[168:169], v[164:165]
	v_add_f64 v[196:197], v[160:161], -v[166:167]
	;; [unrolled: 2-line block ×4, first 2 shown]
	v_add_f64 v[188:189], v[162:163], -v[178:179]
	v_add_f64 v[190:191], v[176:177], v[170:171]
	s_movk_i32 s4, 0x15e
	ds_write_b128 v255, v[156:159]
	ds_write_b128 v255, v[192:195] offset:800
	ds_write_b128 v255, v[200:203] offset:1600
	;; [unrolled: 1-line block ×6, first 2 shown]
	s_and_saveexec_b64 s[0:1], vcc
	s_cbranch_execz .LBB0_5
; %bb.4:
	buffer_load_dword v4, off, s[36:39], 0 offset:56 ; 4-byte Folded Reload
	buffer_load_dword v5, off, s[36:39], 0 offset:60 ; 4-byte Folded Reload
	v_add_f64 v[158:159], v[164:165], -v[168:169]
	v_add_f64 v[156:157], v[166:167], v[160:161]
	v_add_f64 v[2:3], v[170:171], -v[176:177]
	v_add_f64 v[0:1], v[178:179], v[162:163]
	s_waitcnt vmcnt(0)
	v_mad_legacy_u16 v4, v4, s4, v5
	v_lshlrev_b32_e32 v4, 4, v4
	ds_write_b128 v4, v[152:155]
	ds_write_b128 v4, v[156:159] offset:800
	ds_write_b128 v4, v[0:3] offset:1600
	ds_write_b128 v4, v[172:175] offset:2400
	ds_write_b128 v4, v[180:183] offset:3200
	ds_write_b128 v4, v[188:191] offset:4000
	ds_write_b128 v4, v[196:199] offset:4800
.LBB0_5:
	s_or_b64 exec, exec, s[0:1]
	v_lshlrev_b32_e32 v0, 4, v252
	v_add_co_u32_e64 v253, s[0:1], s12, v0
	v_mov_b32_e32 v0, s13
	v_addc_co_u32_e64 v0, s[0:1], 0, v0, s[0:1]
	v_lshlrev_b32_e32 v9, 6, v252
	v_add_co_u32_e64 v11, s[0:1], s14, v9
	v_mov_b32_e32 v205, s15
	v_addc_co_u32_e64 v153, s[0:1], 0, v205, s[0:1]
	s_movk_i32 s4, 0x15c0
	v_add_co_u32_e64 v9, s[0:1], s4, v11
	v_addc_co_u32_e64 v10, s[0:1], 0, v153, s[0:1]
	s_movk_i32 s5, 0x1000
	v_add_co_u32_e64 v152, s[0:1], s5, v11
	v_addc_co_u32_e64 v153, s[0:1], 0, v153, s[0:1]
	s_waitcnt lgkmcnt(0)
	s_barrier
	ds_read_b128 v[206:209], v251
	ds_read_b128 v[168:171], v251 offset:5600
	ds_read_b128 v[176:179], v251 offset:11200
	;; [unrolled: 1-line block ×9, first 2 shown]
	global_load_dwordx4 v[156:159], v[152:153], off offset:1472
	s_nop 0
	global_load_dwordx4 v[152:155], v[9:10], off offset:48
	global_load_dwordx4 v[160:163], v[9:10], off offset:32
	;; [unrolled: 1-line block ×3, first 2 shown]
	s_mov_b32 s6, 0x134454ff
	s_mov_b32 s7, 0x3fee6f0e
	s_mov_b32 s17, 0xbfee6f0e
	s_mov_b32 s16, s6
	s_mov_b32 s12, 0x4755a5e
	s_mov_b32 s13, 0x3fe2cf23
	s_mov_b32 s15, 0xbfe2cf23
	s_waitcnt vmcnt(3) lgkmcnt(8)
	v_mul_f64 v[9:10], v[170:171], v[158:159]
	v_fma_f64 v[212:213], v[168:169], v[156:157], -v[9:10]
	v_mul_f64 v[9:10], v[168:169], v[158:159]
	v_fma_f64 v[220:221], v[170:171], v[156:157], v[9:10]
	s_waitcnt vmcnt(0) lgkmcnt(7)
	v_mul_f64 v[9:10], v[178:179], v[166:167]
	v_fma_f64 v[216:217], v[176:177], v[164:165], -v[9:10]
	v_mul_f64 v[9:10], v[176:177], v[166:167]
	v_fma_f64 v[224:225], v[178:179], v[164:165], v[9:10]
	s_waitcnt lgkmcnt(6)
	v_mul_f64 v[9:10], v[186:187], v[162:163]
	v_fma_f64 v[247:248], v[184:185], v[160:161], -v[9:10]
	v_mul_f64 v[9:10], v[184:185], v[162:163]
	v_fma_f64 v[243:244], v[186:187], v[160:161], v[9:10]
	s_waitcnt lgkmcnt(5)
	v_mul_f64 v[9:10], v[194:195], v[154:155]
	v_fma_f64 v[249:250], v[192:193], v[152:153], -v[9:10]
	v_mul_f64 v[9:10], v[192:193], v[154:155]
	v_add_f64 v[210:211], v[249:250], -v[247:248]
	v_fma_f64 v[245:246], v[194:195], v[152:153], v[9:10]
	v_lshlrev_b32_e32 v9, 6, v204
	v_add_co_u32_e64 v11, s[0:1], s14, v9
	v_addc_co_u32_e64 v169, s[0:1], 0, v205, s[0:1]
	v_add_co_u32_e64 v9, s[0:1], s4, v11
	v_addc_co_u32_e64 v10, s[0:1], 0, v169, s[0:1]
	;; [unrolled: 2-line block ×3, first 2 shown]
	global_load_dwordx4 v[184:187], v[168:169], off offset:1472
	s_nop 0
	global_load_dwordx4 v[168:171], v[9:10], off offset:48
	global_load_dwordx4 v[176:179], v[9:10], off offset:32
	;; [unrolled: 1-line block ×3, first 2 shown]
	s_mov_b32 s14, s12
	s_mov_b32 s4, 0x372fe950
	;; [unrolled: 1-line block ×3, first 2 shown]
	s_movk_i32 s0, 0x6d60
	s_waitcnt vmcnt(3) lgkmcnt(3)
	v_mul_f64 v[9:10], v[229:230], v[186:187]
	v_fma_f64 v[235:236], v[227:228], v[184:185], -v[9:10]
	v_mul_f64 v[9:10], v[227:228], v[186:187]
	v_fma_f64 v[227:228], v[229:230], v[184:185], v[9:10]
	s_waitcnt vmcnt(0) lgkmcnt(2)
	v_mul_f64 v[9:10], v[233:234], v[194:195]
	v_fma_f64 v[237:238], v[231:232], v[192:193], -v[9:10]
	v_mul_f64 v[9:10], v[231:232], v[194:195]
	v_fma_f64 v[229:230], v[233:234], v[192:193], v[9:10]
	s_waitcnt lgkmcnt(1)
	v_mul_f64 v[9:10], v[3:4], v[178:179]
	v_fma_f64 v[239:240], v[1:2], v[176:177], -v[9:10]
	v_mul_f64 v[1:2], v[1:2], v[178:179]
	v_add_f64 v[9:10], v[212:213], -v[216:217]
	v_fma_f64 v[231:232], v[3:4], v[176:177], v[1:2]
	s_waitcnt lgkmcnt(0)
	v_mul_f64 v[1:2], v[7:8], v[170:171]
	v_add_f64 v[3:4], v[220:221], -v[245:246]
	v_add_f64 v[9:10], v[9:10], v[210:211]
	v_fma_f64 v[241:242], v[5:6], v[168:169], -v[1:2]
	v_mul_f64 v[1:2], v[5:6], v[170:171]
	v_fma_f64 v[233:234], v[7:8], v[168:169], v[1:2]
	v_add_f64 v[1:2], v[206:207], v[212:213]
	v_add_f64 v[7:8], v[224:225], -v[243:244]
	v_add_f64 v[1:2], v[1:2], v[216:217]
	v_add_f64 v[1:2], v[1:2], v[247:248]
	;; [unrolled: 1-line block ×4, first 2 shown]
	v_fma_f64 v[1:2], v[1:2], -0.5, v[206:207]
	v_fma_f64 v[5:6], v[3:4], s[6:7], v[1:2]
	v_fma_f64 v[1:2], v[3:4], s[16:17], v[1:2]
	;; [unrolled: 1-line block ×6, first 2 shown]
	v_add_f64 v[1:2], v[212:213], v[249:250]
	v_add_f64 v[9:10], v[216:217], -v[212:213]
	v_fma_f64 v[1:2], v[1:2], -0.5, v[206:207]
	v_add_f64 v[206:207], v[247:248], -v[249:250]
	v_fma_f64 v[5:6], v[7:8], s[16:17], v[1:2]
	v_fma_f64 v[1:2], v[7:8], s[6:7], v[1:2]
	v_add_f64 v[9:10], v[9:10], v[206:207]
	v_add_f64 v[7:8], v[216:217], -v[247:248]
	v_fma_f64 v[5:6], v[3:4], s[12:13], v[5:6]
	v_fma_f64 v[1:2], v[3:4], s[14:15], v[1:2]
	v_add_f64 v[3:4], v[212:213], -v[249:250]
	v_add_f64 v[212:213], v[245:246], -v[243:244]
	v_fma_f64 v[222:223], v[9:10], s[4:5], v[5:6]
	v_fma_f64 v[218:219], v[9:10], s[4:5], v[1:2]
	v_add_f64 v[1:2], v[208:209], v[220:221]
	v_add_f64 v[9:10], v[220:221], -v[224:225]
	v_add_f64 v[1:2], v[1:2], v[224:225]
	v_add_f64 v[9:10], v[9:10], v[212:213]
	;; [unrolled: 1-line block ×5, first 2 shown]
	v_fma_f64 v[1:2], v[1:2], -0.5, v[208:209]
	v_fma_f64 v[5:6], v[3:4], s[16:17], v[1:2]
	v_fma_f64 v[1:2], v[3:4], s[6:7], v[1:2]
	v_fma_f64 v[5:6], v[7:8], s[14:15], v[5:6]
	v_fma_f64 v[1:2], v[7:8], s[12:13], v[1:2]
	v_fma_f64 v[212:213], v[9:10], s[4:5], v[5:6]
	v_fma_f64 v[216:217], v[9:10], s[4:5], v[1:2]
	v_add_f64 v[1:2], v[220:221], v[245:246]
	v_add_f64 v[9:10], v[224:225], -v[220:221]
	v_fma_f64 v[1:2], v[1:2], -0.5, v[208:209]
	v_add_f64 v[208:209], v[243:244], -v[245:246]
	v_add_f64 v[243:244], v[241:242], -v[239:240]
	;; [unrolled: 1-line block ×3, first 2 shown]
	v_fma_f64 v[5:6], v[7:8], s[6:7], v[1:2]
	v_fma_f64 v[1:2], v[7:8], s[16:17], v[1:2]
	v_add_f64 v[9:10], v[9:10], v[208:209]
	v_add_f64 v[7:8], v[227:228], -v[233:234]
	v_add_f64 v[208:209], v[235:236], -v[237:238]
	v_fma_f64 v[5:6], v[3:4], s[14:15], v[5:6]
	v_fma_f64 v[1:2], v[3:4], s[12:13], v[1:2]
	v_add_f64 v[3:4], v[237:238], v[239:240]
	v_add_f64 v[208:209], v[208:209], v[243:244]
	v_fma_f64 v[224:225], v[9:10], s[4:5], v[5:6]
	v_fma_f64 v[220:221], v[9:10], s[4:5], v[1:2]
	v_fma_f64 v[3:4], v[3:4], -0.5, v[200:201]
	v_add_f64 v[9:10], v[229:230], -v[231:232]
	v_add_f64 v[1:2], v[200:201], v[235:236]
	v_fma_f64 v[5:6], v[7:8], s[6:7], v[3:4]
	v_fma_f64 v[3:4], v[7:8], s[16:17], v[3:4]
	v_add_f64 v[1:2], v[1:2], v[237:238]
	v_fma_f64 v[5:6], v[9:10], s[12:13], v[5:6]
	v_fma_f64 v[3:4], v[9:10], s[14:15], v[3:4]
	;; [unrolled: 3-line block ×3, first 2 shown]
	v_add_f64 v[3:4], v[235:236], v[241:242]
	v_add_f64 v[208:209], v[237:238], -v[235:236]
	v_add_f64 v[1:2], v[1:2], v[241:242]
	v_fma_f64 v[3:4], v[3:4], -0.5, v[200:201]
	v_add_f64 v[208:209], v[208:209], v[245:246]
	v_fma_f64 v[200:201], v[9:10], s[16:17], v[3:4]
	v_fma_f64 v[3:4], v[9:10], s[6:7], v[3:4]
	;; [unrolled: 1-line block ×4, first 2 shown]
	v_add_f64 v[7:8], v[229:230], v[231:232]
	v_fma_f64 v[200:201], v[208:209], s[4:5], v[200:201]
	v_fma_f64 v[247:248], v[208:209], s[4:5], v[3:4]
	v_fma_f64 v[9:10], v[7:8], -0.5, v[202:203]
	v_add_f64 v[208:209], v[235:236], -v[241:242]
	v_add_f64 v[235:236], v[237:238], -v[239:240]
	;; [unrolled: 1-line block ×4, first 2 shown]
	v_add_f64 v[3:4], v[202:203], v[227:228]
	v_fma_f64 v[7:8], v[208:209], s[16:17], v[9:10]
	v_fma_f64 v[9:10], v[208:209], s[6:7], v[9:10]
	v_add_f64 v[237:238], v[237:238], v[239:240]
	v_add_f64 v[3:4], v[3:4], v[229:230]
	v_fma_f64 v[7:8], v[235:236], s[14:15], v[7:8]
	v_fma_f64 v[9:10], v[235:236], s[12:13], v[9:10]
	v_add_f64 v[3:4], v[3:4], v[231:232]
	v_fma_f64 v[7:8], v[237:238], s[4:5], v[7:8]
	v_fma_f64 v[245:246], v[237:238], s[4:5], v[9:10]
	v_add_f64 v[9:10], v[227:228], v[233:234]
	v_add_f64 v[227:228], v[229:230], -v[227:228]
	v_add_f64 v[229:230], v[231:232], -v[233:234]
	v_add_f64 v[3:4], v[3:4], v[233:234]
	v_fma_f64 v[9:10], v[9:10], -0.5, v[202:203]
	v_add_f64 v[227:228], v[227:228], v[229:230]
	v_fma_f64 v[202:203], v[235:236], s[6:7], v[9:10]
	v_fma_f64 v[9:10], v[235:236], s[16:17], v[9:10]
	v_fma_f64 v[202:203], v[208:209], s[14:15], v[202:203]
	v_fma_f64 v[9:10], v[208:209], s[12:13], v[9:10]
	v_fma_f64 v[202:203], v[227:228], s[4:5], v[202:203]
	v_fma_f64 v[249:250], v[227:228], s[4:5], v[9:10]
	v_add_co_u32_e64 v9, s[0:1], s0, v253
	v_addc_co_u32_e64 v10, s[0:1], 0, v0, s[0:1]
	s_movk_i32 s0, 0x6000
	ds_write_b128 v251, v[204:207]
	ds_write_b128 v251, v[210:213] offset:5600
	ds_write_b128 v251, v[222:225] offset:11200
	;; [unrolled: 1-line block ×9, first 2 shown]
	v_add_co_u32_e64 v5, s[0:1], s0, v253
	v_addc_co_u32_e64 v6, s[0:1], 0, v0, s[0:1]
	s_waitcnt lgkmcnt(0)
	s_barrier
	global_load_dwordx4 v[5:8], v[5:6], off offset:3424
	ds_read_b128 v[1:4], v251
	s_mov_b32 s0, 0xa000
	v_add_co_u32_e64 v204, s[0:1], s0, v253
	v_addc_co_u32_e64 v205, s[0:1], 0, v0, s[0:1]
	s_mov_b32 s0, 0x8000
	s_waitcnt vmcnt(0) lgkmcnt(0)
	v_mul_f64 v[200:201], v[3:4], v[7:8]
	v_fma_f64 v[200:201], v[1:2], v[5:6], -v[200:201]
	v_mul_f64 v[1:2], v[1:2], v[7:8]
	v_fma_f64 v[202:203], v[3:4], v[5:6], v[1:2]
	global_load_dwordx4 v[5:8], v[204:205], off offset:1040
	ds_read_b128 v[1:4], v251 offset:14000
	ds_write_b128 v251, v[200:203]
	s_waitcnt vmcnt(0) lgkmcnt(1)
	v_mul_f64 v[200:201], v[3:4], v[7:8]
	v_fma_f64 v[200:201], v[1:2], v[5:6], -v[200:201]
	v_mul_f64 v[1:2], v[1:2], v[7:8]
	v_fma_f64 v[202:203], v[3:4], v[5:6], v[1:2]
	global_load_dwordx4 v[5:8], v[9:10], off offset:2800
	ds_read_b128 v[1:4], v251 offset:2800
	ds_write_b128 v251, v[200:203] offset:14000
	s_waitcnt vmcnt(0) lgkmcnt(1)
	v_mul_f64 v[9:10], v[3:4], v[7:8]
	v_fma_f64 v[200:201], v[1:2], v[5:6], -v[9:10]
	v_mul_f64 v[1:2], v[1:2], v[7:8]
	v_fma_f64 v[202:203], v[3:4], v[5:6], v[1:2]
	global_load_dwordx4 v[5:8], v[204:205], off offset:3840
	ds_read_b128 v[1:4], v251 offset:16800
	ds_write_b128 v251, v[200:203] offset:2800
	s_waitcnt vmcnt(0) lgkmcnt(1)
	v_mul_f64 v[9:10], v[3:4], v[7:8]
	v_fma_f64 v[200:201], v[1:2], v[5:6], -v[9:10]
	v_mul_f64 v[1:2], v[1:2], v[7:8]
	v_add_co_u32_e64 v9, s[0:1], s0, v253
	v_addc_co_u32_e64 v10, s[0:1], 0, v0, s[0:1]
	s_mov_b32 s0, 0xb000
	v_fma_f64 v[202:203], v[3:4], v[5:6], v[1:2]
	global_load_dwordx4 v[5:8], v[9:10], off offset:832
	ds_read_b128 v[1:4], v251 offset:5600
	ds_write_b128 v251, v[200:203] offset:16800
	s_waitcnt vmcnt(0) lgkmcnt(1)
	v_mul_f64 v[200:201], v[3:4], v[7:8]
	v_fma_f64 v[200:201], v[1:2], v[5:6], -v[200:201]
	v_mul_f64 v[1:2], v[1:2], v[7:8]
	v_fma_f64 v[202:203], v[3:4], v[5:6], v[1:2]
	v_add_co_u32_e64 v5, s[0:1], s0, v253
	v_addc_co_u32_e64 v6, s[0:1], 0, v0, s[0:1]
	global_load_dwordx4 v[5:8], v[5:6], off offset:2544
	ds_read_b128 v[1:4], v251 offset:19600
	s_mov_b32 s0, 0xc000
	ds_write_b128 v251, v[200:203] offset:5600
	s_waitcnt vmcnt(0) lgkmcnt(1)
	v_mul_f64 v[200:201], v[3:4], v[7:8]
	v_fma_f64 v[200:201], v[1:2], v[5:6], -v[200:201]
	v_mul_f64 v[1:2], v[1:2], v[7:8]
	v_fma_f64 v[202:203], v[3:4], v[5:6], v[1:2]
	global_load_dwordx4 v[5:8], v[9:10], off offset:3632
	ds_read_b128 v[1:4], v251 offset:8400
	ds_write_b128 v251, v[200:203] offset:19600
	s_waitcnt vmcnt(0) lgkmcnt(1)
	v_mul_f64 v[9:10], v[3:4], v[7:8]
	v_fma_f64 v[200:201], v[1:2], v[5:6], -v[9:10]
	v_mul_f64 v[1:2], v[1:2], v[7:8]
	v_add_co_u32_e64 v9, s[0:1], s0, v253
	v_addc_co_u32_e64 v10, s[0:1], 0, v0, s[0:1]
	s_mov_b32 s0, 0x9000
	v_fma_f64 v[202:203], v[3:4], v[5:6], v[1:2]
	global_load_dwordx4 v[5:8], v[9:10], off offset:1248
	ds_read_b128 v[1:4], v251 offset:22400
	ds_write_b128 v251, v[200:203] offset:8400
	s_waitcnt vmcnt(0) lgkmcnt(1)
	v_mul_f64 v[200:201], v[3:4], v[7:8]
	v_fma_f64 v[200:201], v[1:2], v[5:6], -v[200:201]
	v_mul_f64 v[1:2], v[1:2], v[7:8]
	v_fma_f64 v[202:203], v[3:4], v[5:6], v[1:2]
	v_add_co_u32_e64 v5, s[0:1], s0, v253
	v_addc_co_u32_e64 v6, s[0:1], 0, v0, s[0:1]
	global_load_dwordx4 v[5:8], v[5:6], off offset:2336
	ds_read_b128 v[1:4], v251 offset:11200
	ds_write_b128 v251, v[200:203] offset:22400
	s_waitcnt vmcnt(0) lgkmcnt(1)
	v_mul_f64 v[200:201], v[3:4], v[7:8]
	v_fma_f64 v[200:201], v[1:2], v[5:6], -v[200:201]
	v_mul_f64 v[0:1], v[1:2], v[7:8]
	v_fma_f64 v[202:203], v[3:4], v[5:6], v[0:1]
	global_load_dwordx4 v[4:7], v[9:10], off offset:4048
	ds_read_b128 v[0:3], v251 offset:25200
	ds_write_b128 v251, v[200:203] offset:11200
	s_waitcnt vmcnt(0) lgkmcnt(1)
	v_mul_f64 v[8:9], v[2:3], v[6:7]
	v_fma_f64 v[8:9], v[0:1], v[4:5], -v[8:9]
	v_mul_f64 v[0:1], v[0:1], v[6:7]
	v_fma_f64 v[10:11], v[2:3], v[4:5], v[0:1]
	ds_write_b128 v251, v[8:11] offset:25200
	s_waitcnt lgkmcnt(0)
	s_barrier
	ds_read_b128 v[0:3], v251
	ds_read_b128 v[4:7], v251 offset:14000
	ds_read_b128 v[8:11], v251 offset:2800
	;; [unrolled: 1-line block ×9, first 2 shown]
	s_waitcnt lgkmcnt(0)
	s_barrier
	buffer_load_dword v224, off, s[36:39], 0 offset:72 ; 4-byte Folded Reload
	v_add_f64 v[4:5], v[0:1], -v[4:5]
	v_add_f64 v[6:7], v[2:3], -v[6:7]
	;; [unrolled: 1-line block ×8, first 2 shown]
	v_fma_f64 v[0:1], v[0:1], 2.0, -v[4:5]
	v_fma_f64 v[2:3], v[2:3], 2.0, -v[6:7]
	s_waitcnt vmcnt(0)
	ds_write_b128 v224, v[0:3]
	ds_write_b128 v224, v[4:7] offset:16
	buffer_load_dword v0, off, s[36:39], 0 offset:76 ; 4-byte Folded Reload
	v_fma_f64 v[8:9], v[8:9], 2.0, -v[200:201]
	v_fma_f64 v[10:11], v[10:11], 2.0, -v[202:203]
	s_waitcnt vmcnt(0)
	ds_write_b128 v0, v[8:11]
	ds_write_b128 v0, v[200:203] offset:16
	buffer_load_dword v0, off, s[36:39], 0 offset:88 ; 4-byte Folded Reload
	;; [unrolled: 6-line block ×4, first 2 shown]
	v_add_f64 v[227:228], v[220:221], -v[227:228]
	v_add_f64 v[229:230], v[222:223], -v[229:230]
	v_fma_f64 v[220:221], v[220:221], 2.0, -v[227:228]
	v_fma_f64 v[222:223], v[222:223], 2.0, -v[229:230]
	s_waitcnt vmcnt(0)
	ds_write_b128 v0, v[220:223]
	ds_write_b128 v0, v[227:230] offset:16
	s_waitcnt lgkmcnt(0)
	s_barrier
	ds_read_b128 v[204:207], v251
	ds_read_b128 v[0:3], v251 offset:5600
	ds_read_b128 v[4:7], v251 offset:11200
	;; [unrolled: 1-line block ×9, first 2 shown]
	s_waitcnt lgkmcnt(8)
	v_mul_f64 v[224:225], v[150:151], v[2:3]
	s_waitcnt lgkmcnt(0)
	s_barrier
	v_fma_f64 v[224:225], v[148:149], v[0:1], v[224:225]
	v_mul_f64 v[0:1], v[150:151], v[0:1]
	v_fma_f64 v[0:1], v[148:149], v[2:3], -v[0:1]
	v_mul_f64 v[2:3], v[142:143], v[6:7]
	v_fma_f64 v[2:3], v[140:141], v[4:5], v[2:3]
	v_mul_f64 v[4:5], v[142:143], v[4:5]
	v_fma_f64 v[4:5], v[140:141], v[6:7], -v[4:5]
	v_mul_f64 v[6:7], v[126:127], v[10:11]
	;; [unrolled: 4-line block ×3, first 2 shown]
	v_mul_f64 v[122:123], v[122:123], v[208:209]
	v_fma_f64 v[10:11], v[120:121], v[208:209], v[10:11]
	v_fma_f64 v[231:232], v[120:121], v[210:211], -v[122:123]
	v_mul_f64 v[120:121], v[146:147], v[214:215]
	v_add_f64 v[122:123], v[2:3], v[6:7]
	v_add_f64 v[126:127], v[0:1], -v[231:232]
	v_fma_f64 v[148:149], v[144:145], v[212:213], v[120:121]
	v_mul_f64 v[120:121], v[146:147], v[212:213]
	v_fma_f64 v[122:123], v[122:123], -0.5, v[204:205]
	v_fma_f64 v[140:141], v[144:145], v[214:215], -v[120:121]
	v_mul_f64 v[120:121], v[138:139], v[218:219]
	v_fma_f64 v[124:125], v[126:127], s[16:17], v[122:123]
	v_fma_f64 v[122:123], v[126:127], s[6:7], v[122:123]
	;; [unrolled: 1-line block ×3, first 2 shown]
	v_mul_f64 v[120:121], v[138:139], v[216:217]
	v_fma_f64 v[142:143], v[136:137], v[218:219], -v[120:121]
	v_mul_f64 v[120:121], v[134:135], v[222:223]
	v_add_f64 v[136:137], v[6:7], -v[10:11]
	v_fma_f64 v[208:209], v[132:133], v[220:221], v[120:121]
	v_mul_f64 v[120:121], v[134:135], v[220:221]
	v_add_f64 v[134:135], v[2:3], -v[224:225]
	v_fma_f64 v[144:145], v[132:133], v[222:223], -v[120:121]
	v_mul_f64 v[120:121], v[130:131], v[229:230]
	v_add_f64 v[132:133], v[10:11], -v[6:7]
	v_add_f64 v[134:135], v[134:135], v[136:137]
	v_fma_f64 v[210:211], v[128:129], v[227:228], v[120:121]
	v_mul_f64 v[120:121], v[130:131], v[227:228]
	v_add_f64 v[130:131], v[4:5], -v[8:9]
	v_fma_f64 v[146:147], v[128:129], v[229:230], -v[120:121]
	v_add_f64 v[128:129], v[224:225], -v[2:3]
	v_fma_f64 v[124:125], v[130:131], s[14:15], v[124:125]
	v_fma_f64 v[122:123], v[130:131], s[12:13], v[122:123]
	v_add_f64 v[120:121], v[204:205], v[224:225]
	v_add_f64 v[132:133], v[128:129], v[132:133]
	;; [unrolled: 1-line block ×3, first 2 shown]
	v_add_f64 v[2:3], v[2:3], -v[6:7]
	v_fma_f64 v[128:129], v[132:133], s[4:5], v[124:125]
	v_fma_f64 v[124:125], v[132:133], s[4:5], v[122:123]
	v_add_f64 v[122:123], v[224:225], v[10:11]
	v_add_f64 v[120:121], v[120:121], v[6:7]
	v_fma_f64 v[122:123], v[122:123], -0.5, v[204:205]
	v_add_f64 v[120:121], v[120:121], v[10:11]
	v_add_f64 v[10:11], v[224:225], -v[10:11]
	v_add_f64 v[204:205], v[210:211], -v[208:209]
	v_fma_f64 v[132:133], v[130:131], s[6:7], v[122:123]
	v_fma_f64 v[122:123], v[130:131], s[16:17], v[122:123]
	v_fma_f64 v[132:133], v[126:127], s[14:15], v[132:133]
	v_fma_f64 v[122:123], v[126:127], s[12:13], v[122:123]
	v_add_f64 v[126:127], v[4:5], v[8:9]
	v_fma_f64 v[136:137], v[134:135], s[4:5], v[132:133]
	v_fma_f64 v[132:133], v[134:135], s[4:5], v[122:123]
	v_fma_f64 v[126:127], v[126:127], -0.5, v[206:207]
	v_add_f64 v[134:135], v[231:232], -v[8:9]
	v_add_f64 v[122:123], v[206:207], v[0:1]
	v_fma_f64 v[130:131], v[10:11], s[6:7], v[126:127]
	v_add_f64 v[122:123], v[122:123], v[4:5]
	v_fma_f64 v[6:7], v[2:3], s[12:13], v[130:131]
	v_add_f64 v[130:131], v[0:1], -v[4:5]
	v_add_f64 v[122:123], v[122:123], v[8:9]
	v_add_f64 v[134:135], v[130:131], v[134:135]
	;; [unrolled: 1-line block ×3, first 2 shown]
	v_fma_f64 v[130:131], v[134:135], s[4:5], v[6:7]
	v_fma_f64 v[6:7], v[10:11], s[16:17], v[126:127]
	v_fma_f64 v[6:7], v[2:3], s[14:15], v[6:7]
	v_fma_f64 v[126:127], v[134:135], s[4:5], v[6:7]
	v_add_f64 v[6:7], v[0:1], v[231:232]
	v_add_f64 v[0:1], v[4:5], -v[0:1]
	v_add_f64 v[4:5], v[8:9], -v[231:232]
	;; [unrolled: 1-line block ×3, first 2 shown]
	v_fma_f64 v[6:7], v[6:7], -0.5, v[206:207]
	v_add_f64 v[206:207], v[208:209], -v[210:211]
	v_add_f64 v[0:1], v[0:1], v[4:5]
	v_add_f64 v[8:9], v[8:9], v[204:205]
	v_add_f64 v[204:205], v[150:151], -v[148:149]
	v_fma_f64 v[134:135], v[2:3], s[16:17], v[6:7]
	v_fma_f64 v[2:3], v[2:3], s[6:7], v[6:7]
	v_add_f64 v[6:7], v[140:141], -v[146:147]
	v_add_f64 v[204:205], v[204:205], v[206:207]
	v_add_f64 v[206:207], v[140:141], -v[142:143]
	v_fma_f64 v[134:135], v[10:11], s[12:13], v[134:135]
	v_fma_f64 v[2:3], v[10:11], s[14:15], v[2:3]
	v_add_f64 v[10:11], v[142:143], -v[144:145]
	v_fma_f64 v[138:139], v[0:1], s[4:5], v[134:135]
	v_fma_f64 v[134:135], v[0:1], s[4:5], v[2:3]
	v_add_f64 v[2:3], v[150:151], v[208:209]
	v_add_f64 v[0:1], v[200:201], v[148:149]
	v_fma_f64 v[2:3], v[2:3], -0.5, v[200:201]
	v_add_f64 v[0:1], v[0:1], v[150:151]
	v_add_f64 v[150:151], v[150:151], -v[208:209]
	v_fma_f64 v[4:5], v[6:7], s[16:17], v[2:3]
	v_fma_f64 v[2:3], v[6:7], s[6:7], v[2:3]
	v_add_f64 v[0:1], v[0:1], v[208:209]
	v_add_f64 v[208:209], v[146:147], -v[144:145]
	v_fma_f64 v[4:5], v[10:11], s[14:15], v[4:5]
	v_fma_f64 v[2:3], v[10:11], s[12:13], v[2:3]
	v_add_f64 v[0:1], v[0:1], v[210:211]
	v_add_f64 v[206:207], v[206:207], v[208:209]
	v_fma_f64 v[4:5], v[8:9], s[4:5], v[4:5]
	v_fma_f64 v[8:9], v[8:9], s[4:5], v[2:3]
	v_add_f64 v[2:3], v[148:149], v[210:211]
	v_add_f64 v[148:149], v[148:149], -v[210:211]
	v_fma_f64 v[2:3], v[2:3], -0.5, v[200:201]
	v_fma_f64 v[200:201], v[10:11], s[6:7], v[2:3]
	v_fma_f64 v[2:3], v[10:11], s[16:17], v[2:3]
	;; [unrolled: 1-line block ×4, first 2 shown]
	v_add_f64 v[6:7], v[142:143], v[144:145]
	v_fma_f64 v[200:201], v[204:205], s[4:5], v[200:201]
	v_fma_f64 v[204:205], v[204:205], s[4:5], v[2:3]
	v_fma_f64 v[10:11], v[6:7], -0.5, v[202:203]
	v_add_f64 v[2:3], v[202:203], v[140:141]
	v_fma_f64 v[6:7], v[148:149], s[6:7], v[10:11]
	v_fma_f64 v[10:11], v[148:149], s[16:17], v[10:11]
	v_add_f64 v[2:3], v[2:3], v[142:143]
	v_fma_f64 v[6:7], v[150:151], s[12:13], v[6:7]
	v_fma_f64 v[10:11], v[150:151], s[14:15], v[10:11]
	;; [unrolled: 3-line block ×3, first 2 shown]
	v_add_f64 v[206:207], v[140:141], v[146:147]
	v_add_f64 v[140:141], v[142:143], -v[140:141]
	v_add_f64 v[142:143], v[144:145], -v[146:147]
	v_add_f64 v[2:3], v[2:3], v[146:147]
	v_fma_f64 v[206:207], v[206:207], -0.5, v[202:203]
	v_add_f64 v[140:141], v[140:141], v[142:143]
	v_fma_f64 v[202:203], v[150:151], s[16:17], v[206:207]
	v_fma_f64 v[142:143], v[150:151], s[6:7], v[206:207]
	;; [unrolled: 1-line block ×6, first 2 shown]
	ds_write_b128 v254, v[120:123]
	ds_write_b128 v254, v[128:131] offset:32
	ds_write_b128 v254, v[136:139] offset:64
	;; [unrolled: 1-line block ×4, first 2 shown]
	ds_write_b128 v226, v[0:3]
	ds_write_b128 v226, v[4:7] offset:32
	ds_write_b128 v226, v[200:203] offset:64
	ds_write_b128 v226, v[204:207] offset:96
	ds_write_b128 v226, v[8:11] offset:128
	s_waitcnt lgkmcnt(0)
	s_barrier
	ds_read_b128 v[124:127], v251
	ds_read_b128 v[0:3], v251 offset:5600
	ds_read_b128 v[4:7], v251 offset:11200
	;; [unrolled: 1-line block ×9, first 2 shown]
	s_waitcnt lgkmcnt(8)
	v_mul_f64 v[148:149], v[102:103], v[2:3]
	s_waitcnt lgkmcnt(0)
	s_barrier
	v_fma_f64 v[148:149], v[100:101], v[0:1], v[148:149]
	v_mul_f64 v[0:1], v[102:103], v[0:1]
	v_fma_f64 v[0:1], v[100:101], v[2:3], -v[0:1]
	v_mul_f64 v[2:3], v[94:95], v[6:7]
	v_fma_f64 v[2:3], v[92:93], v[4:5], v[2:3]
	v_mul_f64 v[4:5], v[94:95], v[4:5]
	v_fma_f64 v[4:5], v[92:93], v[6:7], -v[4:5]
	v_mul_f64 v[6:7], v[90:91], v[10:11]
	v_mul_f64 v[92:93], v[110:111], v[138:139]
	v_fma_f64 v[6:7], v[88:89], v[8:9], v[6:7]
	v_mul_f64 v[8:9], v[90:91], v[8:9]
	v_mul_f64 v[90:91], v[106:107], v[134:135]
	v_fma_f64 v[8:9], v[88:89], v[10:11], -v[8:9]
	v_fma_f64 v[94:95], v[104:105], v[132:133], v[90:91]
	v_mul_f64 v[90:91], v[106:107], v[132:133]
	v_fma_f64 v[132:133], v[108:109], v[136:137], v[92:93]
	v_mul_f64 v[92:93], v[110:111], v[136:137]
	v_mul_f64 v[10:11], v[98:99], v[130:131]
	;; [unrolled: 1-line block ×3, first 2 shown]
	v_add_f64 v[110:111], v[2:3], -v[148:149]
	v_add_f64 v[106:107], v[4:5], -v[8:9]
	v_fma_f64 v[90:91], v[104:105], v[134:135], -v[90:91]
	v_add_f64 v[104:105], v[148:149], -v[2:3]
	v_fma_f64 v[98:99], v[108:109], v[138:139], -v[92:93]
	v_mul_f64 v[92:93], v[114:115], v[142:143]
	v_fma_f64 v[10:11], v[96:97], v[128:129], v[10:11]
	v_fma_f64 v[88:89], v[96:97], v[130:131], -v[88:89]
	v_fma_f64 v[134:135], v[112:113], v[140:141], v[92:93]
	v_mul_f64 v[92:93], v[114:115], v[140:141]
	v_add_f64 v[96:97], v[0:1], -v[88:89]
	v_add_f64 v[108:109], v[10:11], -v[6:7]
	v_fma_f64 v[128:129], v[112:113], v[142:143], -v[92:93]
	v_mul_f64 v[92:93], v[118:119], v[146:147]
	v_add_f64 v[104:105], v[104:105], v[108:109]
	v_add_f64 v[112:113], v[6:7], -v[10:11]
	v_fma_f64 v[136:137], v[116:117], v[144:145], v[92:93]
	v_mul_f64 v[92:93], v[118:119], v[144:145]
	v_add_f64 v[110:111], v[110:111], v[112:113]
	v_fma_f64 v[130:131], v[116:117], v[146:147], -v[92:93]
	v_add_f64 v[92:93], v[124:125], v[148:149]
	v_add_f64 v[92:93], v[92:93], v[2:3]
	;; [unrolled: 1-line block ×5, first 2 shown]
	v_add_f64 v[2:3], v[2:3], -v[6:7]
	v_fma_f64 v[92:93], v[92:93], -0.5, v[124:125]
	v_fma_f64 v[102:103], v[96:97], s[16:17], v[92:93]
	v_fma_f64 v[92:93], v[96:97], s[6:7], v[92:93]
	;; [unrolled: 1-line block ×6, first 2 shown]
	v_add_f64 v[92:93], v[148:149], v[10:11]
	v_add_f64 v[10:11], v[148:149], -v[10:11]
	v_fma_f64 v[92:93], v[92:93], -0.5, v[124:125]
	v_add_f64 v[124:125], v[130:131], -v[128:129]
	v_fma_f64 v[102:103], v[106:107], s[6:7], v[92:93]
	v_fma_f64 v[92:93], v[106:107], s[16:17], v[92:93]
	v_add_f64 v[106:107], v[88:89], -v[8:9]
	v_fma_f64 v[102:103], v[96:97], s[14:15], v[102:103]
	v_fma_f64 v[92:93], v[96:97], s[12:13], v[92:93]
	;; [unrolled: 1-line block ×4, first 2 shown]
	v_add_f64 v[92:93], v[126:127], v[0:1]
	v_add_f64 v[92:93], v[92:93], v[4:5]
	;; [unrolled: 1-line block ×5, first 2 shown]
	v_fma_f64 v[92:93], v[92:93], -0.5, v[126:127]
	v_fma_f64 v[96:97], v[10:11], s[6:7], v[92:93]
	v_fma_f64 v[6:7], v[2:3], s[12:13], v[96:97]
	v_add_f64 v[96:97], v[0:1], -v[4:5]
	v_add_f64 v[96:97], v[96:97], v[106:107]
	v_fma_f64 v[110:111], v[96:97], s[4:5], v[6:7]
	v_fma_f64 v[6:7], v[10:11], s[16:17], v[92:93]
	;; [unrolled: 1-line block ×4, first 2 shown]
	v_add_f64 v[6:7], v[0:1], v[88:89]
	v_add_f64 v[0:1], v[4:5], -v[0:1]
	v_add_f64 v[4:5], v[8:9], -v[88:89]
	;; [unrolled: 1-line block ×5, first 2 shown]
	v_fma_f64 v[6:7], v[6:7], -0.5, v[126:127]
	v_add_f64 v[0:1], v[0:1], v[4:5]
	v_fma_f64 v[92:93], v[2:3], s[16:17], v[6:7]
	v_fma_f64 v[2:3], v[2:3], s[6:7], v[6:7]
	v_add_f64 v[6:7], v[90:91], -v[130:131]
	v_fma_f64 v[92:93], v[10:11], s[12:13], v[92:93]
	v_fma_f64 v[2:3], v[10:11], s[14:15], v[2:3]
	v_add_f64 v[10:11], v[94:95], -v[132:133]
	v_fma_f64 v[118:119], v[0:1], s[4:5], v[92:93]
	v_fma_f64 v[114:115], v[0:1], s[4:5], v[2:3]
	v_add_f64 v[2:3], v[132:133], v[134:135]
	v_add_f64 v[10:11], v[10:11], v[88:89]
	v_add_f64 v[88:89], v[132:133], -v[94:95]
	v_add_f64 v[0:1], v[120:121], v[94:95]
	v_fma_f64 v[2:3], v[2:3], -0.5, v[120:121]
	v_add_f64 v[96:97], v[88:89], v[96:97]
	v_add_f64 v[0:1], v[0:1], v[132:133]
	v_fma_f64 v[4:5], v[6:7], s[16:17], v[2:3]
	v_fma_f64 v[2:3], v[6:7], s[6:7], v[2:3]
	v_add_f64 v[0:1], v[0:1], v[134:135]
	v_fma_f64 v[4:5], v[8:9], s[14:15], v[4:5]
	v_fma_f64 v[2:3], v[8:9], s[12:13], v[2:3]
	;; [unrolled: 3-line block ×3, first 2 shown]
	v_add_f64 v[2:3], v[94:95], v[136:137]
	v_fma_f64 v[2:3], v[2:3], -0.5, v[120:121]
	v_add_f64 v[120:121], v[132:133], -v[134:135]
	v_fma_f64 v[10:11], v[8:9], s[6:7], v[2:3]
	v_fma_f64 v[2:3], v[8:9], s[16:17], v[2:3]
	;; [unrolled: 1-line block ×4, first 2 shown]
	v_add_f64 v[6:7], v[98:99], v[128:129]
	v_fma_f64 v[88:89], v[96:97], s[4:5], v[10:11]
	v_add_f64 v[10:11], v[94:95], -v[136:137]
	v_fma_f64 v[8:9], v[6:7], -0.5, v[122:123]
	v_add_f64 v[94:95], v[90:91], -v[98:99]
	v_fma_f64 v[96:97], v[96:97], s[4:5], v[2:3]
	v_add_f64 v[2:3], v[122:123], v[90:91]
	v_fma_f64 v[6:7], v[10:11], s[6:7], v[8:9]
	v_fma_f64 v[8:9], v[10:11], s[16:17], v[8:9]
	v_add_f64 v[94:95], v[94:95], v[124:125]
	v_add_f64 v[2:3], v[2:3], v[98:99]
	v_fma_f64 v[6:7], v[120:121], s[12:13], v[6:7]
	v_fma_f64 v[8:9], v[120:121], s[14:15], v[8:9]
	v_add_f64 v[2:3], v[2:3], v[128:129]
	v_fma_f64 v[6:7], v[94:95], s[4:5], v[6:7]
	v_fma_f64 v[94:95], v[94:95], s[4:5], v[8:9]
	v_add_f64 v[8:9], v[90:91], v[130:131]
	v_add_f64 v[90:91], v[98:99], -v[90:91]
	v_add_f64 v[98:99], v[128:129], -v[130:131]
	v_add_f64 v[2:3], v[2:3], v[130:131]
	v_fma_f64 v[8:9], v[8:9], -0.5, v[122:123]
	v_add_f64 v[98:99], v[90:91], v[98:99]
	v_fma_f64 v[122:123], v[120:121], s[16:17], v[8:9]
	v_fma_f64 v[8:9], v[120:121], s[6:7], v[8:9]
	;; [unrolled: 1-line block ×6, first 2 shown]
	buffer_load_dword v8, off, s[36:39], 0 offset:64 ; 4-byte Folded Reload
	s_waitcnt vmcnt(0)
	ds_write_b128 v8, v[100:103]
	ds_write_b128 v8, v[108:111] offset:160
	ds_write_b128 v8, v[116:119] offset:320
	;; [unrolled: 1-line block ×4, first 2 shown]
	buffer_load_dword v8, off, s[36:39], 0 offset:68 ; 4-byte Folded Reload
	s_waitcnt vmcnt(0)
	ds_write_b128 v8, v[0:3]
	ds_write_b128 v8, v[4:7] offset:160
	ds_write_b128 v8, v[88:91] offset:320
	;; [unrolled: 1-line block ×4, first 2 shown]
	s_waitcnt lgkmcnt(0)
	s_barrier
	ds_read_b128 v[100:103], v251
	ds_read_b128 v[124:127], v251 offset:4000
	ds_read_b128 v[120:123], v251 offset:8000
	;; [unrolled: 1-line block ×6, first 2 shown]
	s_and_saveexec_b64 s[0:1], vcc
	s_cbranch_execz .LBB0_7
; %bb.6:
	ds_read_b128 v[88:91], v251 offset:2800
	ds_read_b128 v[96:99], v251 offset:6800
	;; [unrolled: 1-line block ×7, first 2 shown]
.LBB0_7:
	s_or_b64 exec, exec, s[0:1]
	s_waitcnt lgkmcnt(5)
	v_mul_f64 v[0:1], v[74:75], v[126:127]
	v_mul_f64 v[2:3], v[74:75], v[124:125]
	s_waitcnt lgkmcnt(4)
	v_mul_f64 v[4:5], v[70:71], v[122:123]
	v_mul_f64 v[6:7], v[70:71], v[120:121]
	;; [unrolled: 3-line block ×3, first 2 shown]
	v_mul_f64 v[70:71], v[78:79], v[114:115]
	v_mul_f64 v[74:75], v[62:63], v[106:107]
	v_fma_f64 v[0:1], v[72:73], v[124:125], v[0:1]
	v_fma_f64 v[2:3], v[72:73], v[126:127], -v[2:3]
	v_fma_f64 v[4:5], v[68:69], v[120:121], v[4:5]
	v_fma_f64 v[6:7], v[68:69], v[122:123], -v[6:7]
	v_mul_f64 v[68:69], v[66:67], v[110:111]
	v_mul_f64 v[66:67], v[66:67], v[108:109]
	;; [unrolled: 1-line block ×4, first 2 shown]
	v_fma_f64 v[8:9], v[80:81], v[116:117], v[8:9]
	v_fma_f64 v[10:11], v[80:81], v[118:119], -v[10:11]
	s_mov_b32 s14, 0x37e14327
	s_mov_b32 s4, 0x36b3c0b5
	v_fma_f64 v[68:69], v[64:65], v[108:109], v[68:69]
	v_fma_f64 v[64:65], v[64:65], v[110:111], -v[66:67]
	v_fma_f64 v[66:67], v[76:77], v[112:113], v[70:71]
	v_fma_f64 v[70:71], v[76:77], v[114:115], -v[72:73]
	;; [unrolled: 2-line block ×3, first 2 shown]
	v_add_f64 v[62:63], v[0:1], v[8:9]
	v_add_f64 v[74:75], v[2:3], v[10:11]
	v_add_f64 v[0:1], v[0:1], -v[8:9]
	v_add_f64 v[2:3], v[2:3], -v[10:11]
	v_add_f64 v[8:9], v[4:5], v[66:67]
	v_add_f64 v[10:11], v[6:7], v[70:71]
	v_add_f64 v[4:5], v[4:5], -v[66:67]
	v_add_f64 v[6:7], v[6:7], -v[70:71]
	;; [unrolled: 4-line block ×4, first 2 shown]
	v_add_f64 v[62:63], v[62:63], -v[66:67]
	v_add_f64 v[74:75], v[74:75], -v[70:71]
	;; [unrolled: 1-line block ×4, first 2 shown]
	v_add_f64 v[80:81], v[68:69], v[4:5]
	v_add_f64 v[82:83], v[60:61], v[6:7]
	v_add_f64 v[104:105], v[68:69], -v[4:5]
	v_add_f64 v[106:107], v[60:61], -v[6:7]
	v_add_f64 v[64:65], v[66:67], v[64:65]
	v_add_f64 v[66:67], v[70:71], v[72:73]
	v_add_f64 v[4:5], v[4:5], -v[0:1]
	v_add_f64 v[6:7], v[6:7], -v[2:3]
	s_mov_b32 s12, 0xe976ee23
	s_mov_b32 s15, 0x3fe948f6
	;; [unrolled: 1-line block ×5, first 2 shown]
	v_add_f64 v[68:69], v[0:1], -v[68:69]
	v_add_f64 v[60:61], v[2:3], -v[60:61]
	v_add_f64 v[70:71], v[80:81], v[0:1]
	v_add_f64 v[72:73], v[82:83], v[2:3]
	v_add_f64 v[0:1], v[100:101], v[64:65]
	v_add_f64 v[2:3], v[102:103], v[66:67]
	v_mul_f64 v[62:63], v[62:63], s[14:15]
	v_mul_f64 v[74:75], v[74:75], s[14:15]
	;; [unrolled: 1-line block ×6, first 2 shown]
	s_mov_b32 s1, 0xbfebfeb5
	v_mul_f64 v[104:105], v[4:5], s[0:1]
	v_mul_f64 v[106:107], v[6:7], s[0:1]
	s_mov_b32 s16, 0xaaaaaaaa
	s_mov_b32 s6, 0x5476071b
	;; [unrolled: 1-line block ×8, first 2 shown]
	v_fma_f64 v[64:65], v[64:65], s[16:17], v[0:1]
	v_fma_f64 v[66:67], v[66:67], s[16:17], v[2:3]
	;; [unrolled: 1-line block ×4, first 2 shown]
	v_fma_f64 v[80:81], v[76:77], s[6:7], -v[80:81]
	v_fma_f64 v[82:83], v[78:79], s[6:7], -v[82:83]
	;; [unrolled: 1-line block ×4, first 2 shown]
	v_fma_f64 v[76:77], v[68:69], s[22:23], v[100:101]
	v_fma_f64 v[78:79], v[60:61], s[22:23], v[102:103]
	s_mov_b32 s25, 0x3fd5d0dc
	s_mov_b32 s24, s22
	v_fma_f64 v[68:69], v[68:69], s[24:25], -v[104:105]
	v_fma_f64 v[60:61], v[60:61], s[24:25], -v[106:107]
	;; [unrolled: 1-line block ×4, first 2 shown]
	s_mov_b32 s18, 0x37c3f68c
	s_mov_b32 s19, 0xbfdc38aa
	v_add_f64 v[100:101], v[8:9], v[64:65]
	v_add_f64 v[102:103], v[10:11], v[66:67]
	v_fma_f64 v[78:79], v[72:73], s[18:19], v[78:79]
	v_fma_f64 v[76:77], v[70:71], s[18:19], v[76:77]
	v_add_f64 v[104:105], v[62:63], v[64:65]
	v_add_f64 v[74:75], v[74:75], v[66:67]
	v_fma_f64 v[106:107], v[72:73], s[18:19], v[60:61]
	v_fma_f64 v[108:109], v[70:71], s[18:19], v[68:69]
	v_add_f64 v[80:81], v[80:81], v[64:65]
	v_add_f64 v[82:83], v[82:83], v[66:67]
	v_fma_f64 v[64:65], v[72:73], s[18:19], v[6:7]
	v_fma_f64 v[66:67], v[70:71], s[18:19], v[4:5]
	v_add_f64 v[4:5], v[78:79], v[100:101]
	v_add_f64 v[6:7], v[102:103], -v[76:77]
	v_add_f64 v[8:9], v[106:107], v[104:105]
	v_add_f64 v[10:11], v[74:75], -v[108:109]
	v_add_f64 v[68:69], v[104:105], -v[106:107]
	v_add_f64 v[70:71], v[108:109], v[74:75]
	v_add_f64 v[60:61], v[80:81], -v[64:65]
	v_add_f64 v[62:63], v[66:67], v[82:83]
	v_add_f64 v[64:65], v[64:65], v[80:81]
	v_add_f64 v[66:67], v[82:83], -v[66:67]
	v_add_f64 v[72:73], v[100:101], -v[78:79]
	v_add_f64 v[74:75], v[76:77], v[102:103]
	s_barrier
	ds_write_b128 v255, v[0:3]
	ds_write_b128 v255, v[4:7] offset:800
	ds_write_b128 v255, v[8:11] offset:1600
	;; [unrolled: 1-line block ×6, first 2 shown]
	s_and_saveexec_b64 s[26:27], vcc
	s_cbranch_execz .LBB0_9
; %bb.8:
	v_mul_f64 v[4:5], v[42:43], v[182:183]
	v_mul_f64 v[6:7], v[46:47], v[174:175]
	;; [unrolled: 1-line block ×10, first 2 shown]
	v_fma_f64 v[4:5], v[40:41], v[180:181], v[4:5]
	v_fma_f64 v[6:7], v[44:45], v[172:173], v[6:7]
	v_fma_f64 v[8:9], v[48:49], v[92:93], v[8:9]
	v_fma_f64 v[10:11], v[84:85], v[188:189], v[10:11]
	v_fma_f64 v[58:59], v[56:57], v[198:199], -v[58:59]
	v_fma_f64 v[54:55], v[52:53], v[98:99], -v[54:55]
	;; [unrolled: 1-line block ×4, first 2 shown]
	v_mul_f64 v[46:47], v[46:47], v[172:173]
	v_mul_f64 v[42:43], v[42:43], v[180:181]
	v_fma_f64 v[0:1], v[52:53], v[96:97], v[0:1]
	v_fma_f64 v[2:3], v[56:57], v[196:197], v[2:3]
	v_add_f64 v[50:51], v[4:5], -v[6:7]
	v_add_f64 v[52:53], v[8:9], -v[10:11]
	v_add_f64 v[56:57], v[54:55], v[58:59]
	v_add_f64 v[62:63], v[48:49], v[60:61]
	v_fma_f64 v[44:45], v[44:45], v[174:175], -v[46:47]
	v_fma_f64 v[40:41], v[40:41], v[182:183], -v[42:43]
	v_add_f64 v[8:9], v[8:9], v[10:11]
	v_add_f64 v[42:43], v[0:1], -v[2:3]
	v_add_f64 v[70:71], v[0:1], v[2:3]
	v_add_f64 v[46:47], v[50:51], -v[52:53]
	v_add_f64 v[0:1], v[50:51], v[52:53]
	v_add_f64 v[64:65], v[62:63], v[56:57]
	;; [unrolled: 1-line block ×4, first 2 shown]
	v_add_f64 v[40:41], v[40:41], -v[44:45]
	v_add_f64 v[68:69], v[42:43], -v[50:51]
	v_add_f64 v[6:7], v[8:9], v[70:71]
	v_mul_f64 v[10:11], v[46:47], s[12:13]
	v_add_f64 v[44:45], v[48:49], -v[60:61]
	v_add_f64 v[54:55], v[54:55], -v[58:59]
	;; [unrolled: 1-line block ×3, first 2 shown]
	v_add_f64 v[46:47], v[66:67], v[64:65]
	v_add_f64 v[64:65], v[0:1], v[42:43]
	v_add_f64 v[0:1], v[56:57], -v[66:67]
	v_add_f64 v[66:67], v[66:67], -v[62:63]
	v_fma_f64 v[50:51], v[68:69], s[22:23], v[10:11]
	v_add_f64 v[6:7], v[4:5], v[6:7]
	v_add_f64 v[74:75], v[44:45], -v[54:55]
	v_add_f64 v[72:73], v[40:41], -v[44:45]
	v_mul_f64 v[48:49], v[48:49], s[14:15]
	v_add_f64 v[4:5], v[4:5], -v[8:9]
	v_add_f64 v[42:43], v[52:53], -v[42:43]
	v_mul_f64 v[58:59], v[66:67], s[4:5]
	v_fma_f64 v[60:61], v[64:65], s[18:19], v[50:51]
	v_mul_f64 v[50:51], v[0:1], s[14:15]
	v_add_f64 v[0:1], v[88:89], v[6:7]
	v_add_f64 v[56:57], v[62:63], -v[56:57]
	v_add_f64 v[8:9], v[8:9], -v[70:71]
	v_mul_f64 v[62:63], v[74:75], s[0:1]
	v_mul_f64 v[72:73], v[72:73], s[12:13]
	v_add_f64 v[2:3], v[90:91], v[46:47]
	v_mul_f64 v[76:77], v[42:43], s[0:1]
	v_fma_f64 v[52:53], v[66:67], s[4:5], v[50:51]
	v_add_f64 v[66:67], v[54:55], -v[40:41]
	v_add_f64 v[40:41], v[40:41], v[44:45]
	v_fma_f64 v[44:45], v[6:7], s[16:17], v[0:1]
	v_fma_f64 v[6:7], v[4:5], s[4:5], v[48:49]
	v_mul_f64 v[4:5], v[4:5], s[4:5]
	v_fma_f64 v[48:49], v[8:9], s[20:21], -v[48:49]
	v_fma_f64 v[50:51], v[56:57], s[20:21], -v[50:51]
	v_fma_f64 v[46:47], v[46:47], s[16:17], v[2:3]
	v_fma_f64 v[62:63], v[66:67], s[24:25], -v[62:63]
	v_add_f64 v[40:41], v[40:41], v[54:55]
	v_fma_f64 v[70:71], v[66:67], s[22:23], v[72:73]
	v_add_f64 v[66:67], v[6:7], v[44:45]
	v_fma_f64 v[6:7], v[56:57], s[6:7], -v[58:59]
	v_add_f64 v[48:49], v[48:49], v[44:45]
	v_fma_f64 v[8:9], v[8:9], s[6:7], -v[4:5]
	v_fma_f64 v[54:55], v[68:69], s[24:25], -v[76:77]
	;; [unrolled: 1-line block ×3, first 2 shown]
	v_fma_f64 v[56:57], v[40:41], s[18:19], v[62:63]
	v_fma_f64 v[42:43], v[74:75], s[0:1], -v[72:73]
	v_add_f64 v[52:53], v[52:53], v[46:47]
	v_fma_f64 v[68:69], v[40:41], s[18:19], v[70:71]
	v_add_f64 v[50:51], v[50:51], v[46:47]
	v_add_f64 v[62:63], v[8:9], v[44:45]
	v_fma_f64 v[54:55], v[64:65], s[18:19], v[54:55]
	v_add_f64 v[46:47], v[6:7], v[46:47]
	v_add_f64 v[8:9], v[48:49], -v[56:57]
	v_add_f64 v[48:49], v[56:57], v[48:49]
	buffer_load_dword v56, off, s[36:39], 0 offset:56 ; 4-byte Folded Reload
	buffer_load_dword v57, off, s[36:39], 0 offset:60 ; 4-byte Folded Reload
	v_fma_f64 v[58:59], v[64:65], s[18:19], v[10:11]
	v_fma_f64 v[40:41], v[40:41], s[18:19], v[42:43]
	v_add_f64 v[6:7], v[60:61], v[52:53]
	v_add_f64 v[10:11], v[54:55], v[50:51]
	v_add_f64 v[50:51], v[50:51], -v[54:55]
	v_add_f64 v[54:55], v[52:53], -v[60:61]
	v_add_f64 v[52:53], v[68:69], v[66:67]
	s_movk_i32 s0, 0x15e
	v_add_f64 v[42:43], v[46:47], -v[58:59]
	v_add_f64 v[46:47], v[58:59], v[46:47]
	v_add_f64 v[44:45], v[62:63], -v[40:41]
	v_add_f64 v[40:41], v[40:41], v[62:63]
	v_add_f64 v[4:5], v[66:67], -v[68:69]
	s_waitcnt vmcnt(0)
	v_mad_legacy_u16 v56, v56, s0, v57
	v_lshlrev_b32_e32 v56, 4, v56
	ds_write_b128 v56, v[0:3]
	ds_write_b128 v56, v[52:55] offset:800
	ds_write_b128 v56, v[48:51] offset:1600
	;; [unrolled: 1-line block ×6, first 2 shown]
.LBB0_9:
	s_or_b64 exec, exec, s[26:27]
	buffer_load_dword v96, off, s[36:39], 0 offset:32 ; 4-byte Folded Reload
	buffer_load_dword v97, off, s[36:39], 0 offset:36 ; 4-byte Folded Reload
	s_waitcnt vmcnt(0) lgkmcnt(0)
	s_barrier
	ds_read_b128 v[0:3], v251
	ds_read_b128 v[4:7], v251 offset:2800
	ds_read_b128 v[8:11], v251 offset:5600
	;; [unrolled: 1-line block ×7, first 2 shown]
	s_waitcnt lgkmcnt(5)
	v_mul_f64 v[70:71], v[158:159], v[10:11]
	v_mul_f64 v[72:73], v[158:159], v[8:9]
	s_waitcnt lgkmcnt(3)
	v_mul_f64 v[74:75], v[166:167], v[48:49]
	s_waitcnt lgkmcnt(1)
	v_mul_f64 v[78:79], v[162:163], v[56:57]
	ds_read_b128 v[62:65], v251 offset:22400
	ds_read_b128 v[66:69], v251 offset:25200
	v_mul_f64 v[76:77], v[166:167], v[46:47]
	v_mul_f64 v[80:81], v[162:163], v[54:55]
	s_mov_b32 s6, 0x4755a5e
	v_fma_f64 v[70:71], v[156:157], v[8:9], v[70:71]
	s_waitcnt lgkmcnt(1)
	v_mul_f64 v[8:9], v[154:155], v[64:65]
	v_mul_f64 v[82:83], v[154:155], v[62:63]
	v_fma_f64 v[72:73], v[156:157], v[10:11], -v[72:73]
	v_fma_f64 v[10:11], v[164:165], v[46:47], v[74:75]
	v_fma_f64 v[46:47], v[160:161], v[54:55], v[78:79]
	v_fma_f64 v[54:55], v[160:161], v[56:57], -v[80:81]
	v_mul_f64 v[56:57], v[186:187], v[44:45]
	v_mul_f64 v[74:75], v[194:195], v[52:53]
	v_fma_f64 v[62:63], v[152:153], v[62:63], v[8:9]
	v_fma_f64 v[64:65], v[152:153], v[64:65], -v[82:83]
	v_mul_f64 v[8:9], v[186:187], v[42:43]
	v_fma_f64 v[48:49], v[164:165], v[48:49], -v[76:77]
	v_add_f64 v[80:81], v[10:11], v[46:47]
	v_add_f64 v[76:77], v[0:1], v[70:71]
	v_mul_f64 v[78:79], v[194:195], v[50:51]
	v_fma_f64 v[56:57], v[184:185], v[42:43], v[56:57]
	v_mul_f64 v[42:43], v[178:179], v[60:61]
	v_fma_f64 v[74:75], v[192:193], v[50:51], v[74:75]
	v_fma_f64 v[84:85], v[184:185], v[44:45], -v[8:9]
	v_add_f64 v[50:51], v[72:73], -v[64:65]
	v_fma_f64 v[44:45], v[80:81], -0.5, v[0:1]
	v_mul_f64 v[82:83], v[178:179], v[58:59]
	v_add_f64 v[8:9], v[76:77], v[10:11]
	v_fma_f64 v[76:77], v[192:193], v[52:53], -v[78:79]
	v_fma_f64 v[58:59], v[176:177], v[58:59], v[42:43]
	s_waitcnt lgkmcnt(0)
	v_mul_f64 v[42:43], v[170:171], v[68:69]
	v_add_f64 v[80:81], v[48:49], -v[54:55]
	v_add_f64 v[88:89], v[70:71], v[62:63]
	s_mov_b32 s7, 0xbfe2cf23
	s_mov_b32 s15, 0x3fee6f0e
	v_fma_f64 v[60:61], v[176:177], v[60:61], -v[82:83]
	v_mul_f64 v[52:53], v[170:171], v[66:67]
	v_add_f64 v[82:83], v[70:71], -v[10:11]
	v_add_f64 v[86:87], v[62:63], -v[46:47]
	v_fma_f64 v[66:67], v[168:169], v[66:67], v[42:43]
	v_fma_f64 v[0:1], v[88:89], -0.5, v[0:1]
	s_mov_b32 s13, 0x3fe2cf23
	s_mov_b32 s12, s6
	v_add_f64 v[8:9], v[8:9], v[46:47]
	v_fma_f64 v[68:69], v[168:169], v[68:69], -v[52:53]
	v_add_f64 v[88:89], v[10:11], -v[70:71]
	v_add_f64 v[52:53], v[82:83], v[86:87]
	v_add_f64 v[90:91], v[46:47], -v[62:63]
	s_mov_b32 s4, 0x372fe950
	s_mov_b32 s5, 0x3fd3c6ef
	v_add_f64 v[82:83], v[48:49], v[54:55]
	v_add_f64 v[8:9], v[8:9], v[62:63]
	v_add_f64 v[62:63], v[70:71], -v[62:63]
	v_add_f64 v[92:93], v[64:65], -v[54:55]
	v_fma_f64 v[82:83], v[82:83], -0.5, v[2:3]
	v_mad_u64_u32 v[40:41], s[0:1], s10, v96, 0
	s_mov_b32 s0, 0x134454ff
	s_mov_b32 s1, 0xbfee6f0e
	v_fma_f64 v[78:79], v[50:51], s[0:1], v[44:45]
	s_mov_b32 s14, s0
	v_fma_f64 v[44:45], v[50:51], s[14:15], v[44:45]
	v_fma_f64 v[86:87], v[80:81], s[14:15], v[0:1]
	;; [unrolled: 1-line block ×3, first 2 shown]
	v_add_f64 v[78:79], v[2:3], v[72:73]
	v_fma_f64 v[44:45], v[80:81], s[12:13], v[44:45]
	v_fma_f64 v[80:81], v[80:81], s[0:1], v[0:1]
	;; [unrolled: 1-line block ×3, first 2 shown]
	v_add_f64 v[86:87], v[88:89], v[90:91]
	v_add_f64 v[88:89], v[10:11], -v[46:47]
	v_add_f64 v[90:91], v[72:73], -v[48:49]
	v_fma_f64 v[0:1], v[52:53], s[4:5], v[42:43]
	v_add_f64 v[78:79], v[78:79], v[48:49]
	v_fma_f64 v[42:43], v[52:53], s[4:5], v[44:45]
	v_fma_f64 v[44:45], v[50:51], s[12:13], v[80:81]
	;; [unrolled: 1-line block ×4, first 2 shown]
	v_add_f64 v[70:71], v[74:75], v[58:59]
	v_fma_f64 v[82:83], v[62:63], s[0:1], v[82:83]
	v_add_f64 v[48:49], v[48:49], -v[72:73]
	v_add_f64 v[52:53], v[78:79], v[54:55]
	v_add_f64 v[78:79], v[72:73], v[64:65]
	v_fma_f64 v[50:51], v[86:87], s[4:5], v[44:45]
	v_add_f64 v[54:55], v[54:55], -v[64:65]
	v_fma_f64 v[44:45], v[88:89], s[12:13], v[80:81]
	v_fma_f64 v[70:71], v[70:71], -0.5, v[4:5]
	v_add_f64 v[80:81], v[90:91], v[92:93]
	v_add_f64 v[72:73], v[76:77], -v[60:61]
	v_add_f64 v[10:11], v[52:53], v[64:65]
	v_fma_f64 v[2:3], v[78:79], -0.5, v[2:3]
	v_add_f64 v[52:53], v[4:5], v[56:57]
	v_add_f64 v[78:79], v[84:85], -v[68:69]
	v_add_f64 v[90:91], v[56:57], -v[74:75]
	;; [unrolled: 1-line block ×3, first 2 shown]
	v_fma_f64 v[82:83], v[88:89], s[6:7], v[82:83]
	v_add_f64 v[54:55], v[48:49], v[54:55]
	v_fma_f64 v[86:87], v[88:89], s[0:1], v[2:3]
	v_fma_f64 v[2:3], v[88:89], s[14:15], v[2:3]
	v_add_f64 v[52:53], v[52:53], v[74:75]
	v_fma_f64 v[64:65], v[78:79], s[0:1], v[70:71]
	v_add_f64 v[88:89], v[56:57], v[66:67]
	v_add_f64 v[90:91], v[90:91], v[92:93]
	;; [unrolled: 1-line block ×3, first 2 shown]
	v_fma_f64 v[86:87], v[62:63], s[12:13], v[86:87]
	v_fma_f64 v[62:63], v[62:63], s[6:7], v[2:3]
	v_add_f64 v[94:95], v[52:53], v[58:59]
	v_fma_f64 v[64:65], v[72:73], s[6:7], v[64:65]
	v_fma_f64 v[88:89], v[88:89], -0.5, v[4:5]
	v_fma_f64 v[2:3], v[80:81], s[4:5], v[44:45]
	v_fma_f64 v[44:45], v[80:81], s[4:5], v[82:83]
	v_add_f64 v[82:83], v[84:85], v[68:69]
	v_fma_f64 v[48:49], v[54:55], s[4:5], v[86:87]
	v_fma_f64 v[52:53], v[54:55], s[4:5], v[62:63]
	v_add_f64 v[62:63], v[76:77], v[60:61]
	v_fma_f64 v[54:55], v[90:91], s[4:5], v[64:65]
	v_fma_f64 v[64:65], v[78:79], s[14:15], v[70:71]
	;; [unrolled: 1-line block ×3, first 2 shown]
	v_add_f64 v[80:81], v[74:75], -v[56:57]
	v_add_f64 v[86:87], v[58:59], -v[66:67]
	;; [unrolled: 1-line block ×4, first 2 shown]
	v_fma_f64 v[62:63], v[62:63], -0.5, v[6:7]
	v_fma_f64 v[6:7], v[82:83], -0.5, v[6:7]
	v_add_f64 v[74:75], v[92:93], v[76:77]
	v_add_f64 v[4:5], v[94:95], v[66:67]
	v_fma_f64 v[64:65], v[72:73], s[12:13], v[64:65]
	v_fma_f64 v[66:67], v[78:79], s[6:7], v[70:71]
	v_add_f64 v[70:71], v[80:81], v[86:87]
	v_fma_f64 v[72:73], v[72:73], s[0:1], v[88:89]
	v_fma_f64 v[80:81], v[56:57], s[14:15], v[62:63]
	v_add_f64 v[82:83], v[84:85], -v[76:77]
	v_add_f64 v[86:87], v[68:69], -v[60:61]
	v_fma_f64 v[88:89], v[58:59], s[0:1], v[6:7]
	v_add_f64 v[76:77], v[76:77], -v[84:85]
	v_add_f64 v[84:85], v[60:61], -v[68:69]
	v_fma_f64 v[62:63], v[56:57], s[0:1], v[62:63]
	v_fma_f64 v[6:7], v[58:59], s[14:15], v[6:7]
	v_add_f64 v[60:61], v[74:75], v[60:61]
	v_fma_f64 v[72:73], v[78:79], s[12:13], v[72:73]
	v_fma_f64 v[74:75], v[58:59], s[12:13], v[80:81]
	v_add_f64 v[78:79], v[82:83], v[86:87]
	v_fma_f64 v[82:83], v[56:57], s[12:13], v[88:89]
	v_add_f64 v[76:77], v[76:77], v[84:85]
	v_fma_f64 v[80:81], v[58:59], s[6:7], v[62:63]
	v_fma_f64 v[84:85], v[56:57], s[6:7], v[6:7]
	v_add_f64 v[6:7], v[60:61], v[68:69]
	v_fma_f64 v[58:59], v[90:91], s[4:5], v[64:65]
	v_fma_f64 v[62:63], v[70:71], s[4:5], v[66:67]
	;; [unrolled: 1-line block ×7, first 2 shown]
	ds_write_b128 v251, v[8:11]
	ds_write_b128 v251, v[0:3] offset:5600
	ds_write_b128 v251, v[46:49] offset:11200
	;; [unrolled: 1-line block ×9, first 2 shown]
	s_waitcnt lgkmcnt(0)
	s_barrier
	ds_read_b128 v[0:3], v251
	ds_read_b128 v[4:7], v251 offset:2800
	v_mov_b32_e32 v8, v41
	v_mov_b32_e32 v48, s3
	s_mul_hi_u32 s3, s8, 0x36b0
	s_waitcnt lgkmcnt(1)
	v_mul_f64 v[9:10], v[38:39], v[2:3]
	v_mul_f64 v[38:39], v[38:39], v[0:1]
	v_mad_u64_u32 v[41:42], s[0:1], s11, v96, v[8:9]
	v_mad_u64_u32 v[42:43], s[0:1], s8, v252, 0
	v_fma_f64 v[8:9], v[36:37], v[0:1], v[9:10]
	v_fma_f64 v[10:11], v[36:37], v[2:3], -v[38:39]
	v_mov_b32_e32 v0, v43
	v_mad_u64_u32 v[36:37], s[4:5], s9, v252, v[0:1]
	ds_read_b128 v[0:3], v251 offset:14000
	s_mov_b32 s0, 0x835d548e
	v_mov_b32_e32 v43, v36
	ds_read_b128 v[36:39], v251 offset:11200
	buffer_load_dword v50, off, s[36:39], 0 ; 4-byte Folded Reload
	buffer_load_dword v51, off, s[36:39], 0 offset:4 ; 4-byte Folded Reload
	buffer_load_dword v52, off, s[36:39], 0 offset:8 ; 4-byte Folded Reload
	;; [unrolled: 1-line block ×3, first 2 shown]
	s_mov_b32 s1, 0x3f42b97d
	v_mul_f64 v[8:9], v[8:9], s[0:1]
	v_mul_f64 v[10:11], v[10:11], s[0:1]
	v_lshlrev_b64 v[40:41], 4, v[40:41]
	s_mul_hi_u32 s5, s8, 0xffffd440
	v_add_co_u32_e32 v49, vcc, s2, v40
	v_addc_co_u32_e32 v48, vcc, v48, v41, vcc
	v_lshlrev_b64 v[40:41], 4, v[42:43]
	s_mul_i32 s2, s9, 0x36b0
	v_add_co_u32_e32 v40, vcc, v49, v40
	v_addc_co_u32_e32 v41, vcc, v48, v41, vcc
	global_store_dwordx4 v[40:41], v[8:11], off
	s_add_i32 s2, s3, s2
	s_mul_i32 s3, s8, 0x36b0
	v_mov_b32_e32 v42, s2
	s_mul_i32 s4, s9, 0xffffd440
	s_sub_i32 s5, s5, s8
	s_add_i32 s4, s5, s4
	s_mul_i32 s5, s8, 0xffffd440
	s_waitcnt vmcnt(1) lgkmcnt(1)
	v_mul_f64 v[44:45], v[52:53], v[2:3]
	v_mul_f64 v[46:47], v[52:53], v[0:1]
	v_fma_f64 v[0:1], v[50:51], v[0:1], v[44:45]
	v_fma_f64 v[2:3], v[50:51], v[2:3], -v[46:47]
	buffer_load_dword v43, off, s[36:39], 0 offset:16 ; 4-byte Folded Reload
	buffer_load_dword v44, off, s[36:39], 0 offset:20 ; 4-byte Folded Reload
	;; [unrolled: 1-line block ×4, first 2 shown]
	v_mov_b32_e32 v50, s4
	v_mul_f64 v[0:1], v[0:1], s[0:1]
	v_mul_f64 v[2:3], v[2:3], s[0:1]
	s_waitcnt vmcnt(0)
	v_mul_f64 v[8:9], v[45:46], v[6:7]
	v_mul_f64 v[10:11], v[45:46], v[4:5]
	v_fma_f64 v[4:5], v[43:44], v[4:5], v[8:9]
	v_fma_f64 v[6:7], v[43:44], v[6:7], -v[10:11]
	v_add_co_u32_e32 v44, vcc, s3, v40
	v_addc_co_u32_e32 v45, vcc, v41, v42, vcc
	global_store_dwordx4 v[44:45], v[0:3], off
	ds_read_b128 v[0:3], v251 offset:16800
	ds_read_b128 v[8:11], v251 offset:19600
	;; [unrolled: 1-line block ×3, first 2 shown]
	v_mul_f64 v[4:5], v[4:5], s[0:1]
	v_mul_f64 v[6:7], v[6:7], s[0:1]
	s_waitcnt lgkmcnt(2)
	v_mul_f64 v[46:47], v[18:19], v[2:3]
	v_mul_f64 v[18:19], v[18:19], v[0:1]
	v_add_co_u32_e32 v44, vcc, s5, v44
	v_addc_co_u32_e32 v45, vcc, v45, v50, vcc
	v_fma_f64 v[46:47], v[16:17], v[0:1], v[46:47]
	v_fma_f64 v[16:17], v[16:17], v[2:3], -v[18:19]
	ds_read_b128 v[0:3], v251 offset:8400
	buffer_load_dword v51, off, s[36:39], 0 offset:40 ; 4-byte Folded Reload
	buffer_load_dword v52, off, s[36:39], 0 offset:44 ; 4-byte Folded Reload
	;; [unrolled: 1-line block ×4, first 2 shown]
	s_waitcnt vmcnt(0) lgkmcnt(1)
	v_mul_f64 v[18:19], v[53:54], v[42:43]
	v_mul_f64 v[48:49], v[53:54], v[40:41]
	global_store_dwordx4 v[44:45], v[4:7], off
	s_nop 0
	v_mul_f64 v[4:5], v[46:47], s[0:1]
	v_mul_f64 v[6:7], v[16:17], s[0:1]
	v_mov_b32_e32 v46, s2
	v_fma_f64 v[16:17], v[51:52], v[40:41], v[18:19]
	v_fma_f64 v[18:19], v[51:52], v[42:43], -v[48:49]
	v_mul_f64 v[40:41], v[14:15], v[10:11]
	v_mul_f64 v[14:15], v[14:15], v[8:9]
	v_add_co_u32_e32 v42, vcc, s3, v44
	v_addc_co_u32_e32 v43, vcc, v45, v46, vcc
	global_store_dwordx4 v[42:43], v[4:7], off
	v_fma_f64 v[8:9], v[12:13], v[8:9], v[40:41]
	v_mul_f64 v[4:5], v[16:17], s[0:1]
	v_mul_f64 v[6:7], v[18:19], s[0:1]
	v_fma_f64 v[10:11], v[12:13], v[10:11], -v[14:15]
	s_waitcnt lgkmcnt(0)
	v_mul_f64 v[12:13], v[34:35], v[2:3]
	v_mul_f64 v[14:15], v[34:35], v[0:1]
	v_mov_b32_e32 v17, s4
	v_add_co_u32_e32 v16, vcc, s5, v42
	v_addc_co_u32_e32 v17, vcc, v43, v17, vcc
	global_store_dwordx4 v[16:17], v[4:7], off
	v_fma_f64 v[12:13], v[32:33], v[0:1], v[12:13]
	v_mul_f64 v[4:5], v[8:9], s[0:1]
	v_mul_f64 v[6:7], v[10:11], s[0:1]
	ds_read_b128 v[8:11], v251 offset:22400
	v_fma_f64 v[14:15], v[32:33], v[2:3], -v[14:15]
	ds_read_b128 v[0:3], v251 offset:25200
	v_mov_b32_e32 v34, s2
	v_add_co_u32_e32 v16, vcc, s3, v16
	s_waitcnt lgkmcnt(1)
	v_mul_f64 v[18:19], v[22:23], v[10:11]
	v_mul_f64 v[22:23], v[22:23], v[8:9]
	v_addc_co_u32_e32 v17, vcc, v17, v34, vcc
	global_store_dwordx4 v[16:17], v[4:7], off
	v_fma_f64 v[8:9], v[20:21], v[8:9], v[18:19]
	v_mul_f64 v[4:5], v[12:13], s[0:1]
	v_mov_b32_e32 v13, s4
	v_add_co_u32_e32 v12, vcc, s5, v16
	v_mul_f64 v[6:7], v[14:15], s[0:1]
	v_fma_f64 v[10:11], v[20:21], v[10:11], -v[22:23]
	v_addc_co_u32_e32 v13, vcc, v17, v13, vcc
	v_mul_f64 v[14:15], v[26:27], v[38:39]
	v_mul_f64 v[16:17], v[26:27], v[36:37]
	s_waitcnt lgkmcnt(0)
	v_mul_f64 v[18:19], v[30:31], v[2:3]
	v_mul_f64 v[20:21], v[30:31], v[0:1]
	global_store_dwordx4 v[12:13], v[4:7], off
	v_mov_b32_e32 v22, s2
	v_mul_f64 v[4:5], v[8:9], s[0:1]
	v_mul_f64 v[6:7], v[10:11], s[0:1]
	v_fma_f64 v[8:9], v[24:25], v[36:37], v[14:15]
	v_fma_f64 v[10:11], v[24:25], v[38:39], -v[16:17]
	v_fma_f64 v[14:15], v[28:29], v[0:1], v[18:19]
	v_fma_f64 v[16:17], v[28:29], v[2:3], -v[20:21]
	v_add_co_u32_e32 v12, vcc, s3, v12
	v_addc_co_u32_e32 v13, vcc, v13, v22, vcc
	v_mul_f64 v[0:1], v[8:9], s[0:1]
	v_mul_f64 v[2:3], v[10:11], s[0:1]
	global_store_dwordx4 v[12:13], v[4:7], off
	v_mov_b32_e32 v9, s4
	v_mul_f64 v[4:5], v[14:15], s[0:1]
	v_mul_f64 v[6:7], v[16:17], s[0:1]
	v_add_co_u32_e32 v8, vcc, s5, v12
	v_addc_co_u32_e32 v9, vcc, v13, v9, vcc
	global_store_dwordx4 v[8:9], v[0:3], off
	s_nop 0
	v_mov_b32_e32 v1, s2
	v_add_co_u32_e32 v0, vcc, s3, v8
	v_addc_co_u32_e32 v1, vcc, v9, v1, vcc
	global_store_dwordx4 v[0:1], v[4:7], off
.LBB0_10:
	s_endpgm
	.section	.rodata,"a",@progbits
	.p2align	6, 0x0
	.amdhsa_kernel bluestein_single_back_len1750_dim1_dp_op_CI_CI
		.amdhsa_group_segment_fixed_size 28000
		.amdhsa_private_segment_fixed_size 96
		.amdhsa_kernarg_size 104
		.amdhsa_user_sgpr_count 6
		.amdhsa_user_sgpr_private_segment_buffer 1
		.amdhsa_user_sgpr_dispatch_ptr 0
		.amdhsa_user_sgpr_queue_ptr 0
		.amdhsa_user_sgpr_kernarg_segment_ptr 1
		.amdhsa_user_sgpr_dispatch_id 0
		.amdhsa_user_sgpr_flat_scratch_init 0
		.amdhsa_user_sgpr_private_segment_size 0
		.amdhsa_uses_dynamic_stack 0
		.amdhsa_system_sgpr_private_segment_wavefront_offset 1
		.amdhsa_system_sgpr_workgroup_id_x 1
		.amdhsa_system_sgpr_workgroup_id_y 0
		.amdhsa_system_sgpr_workgroup_id_z 0
		.amdhsa_system_sgpr_workgroup_info 0
		.amdhsa_system_vgpr_workitem_id 0
		.amdhsa_next_free_vgpr 256
		.amdhsa_next_free_sgpr 40
		.amdhsa_reserve_vcc 1
		.amdhsa_reserve_flat_scratch 0
		.amdhsa_float_round_mode_32 0
		.amdhsa_float_round_mode_16_64 0
		.amdhsa_float_denorm_mode_32 3
		.amdhsa_float_denorm_mode_16_64 3
		.amdhsa_dx10_clamp 1
		.amdhsa_ieee_mode 1
		.amdhsa_fp16_overflow 0
		.amdhsa_exception_fp_ieee_invalid_op 0
		.amdhsa_exception_fp_denorm_src 0
		.amdhsa_exception_fp_ieee_div_zero 0
		.amdhsa_exception_fp_ieee_overflow 0
		.amdhsa_exception_fp_ieee_underflow 0
		.amdhsa_exception_fp_ieee_inexact 0
		.amdhsa_exception_int_div_zero 0
	.end_amdhsa_kernel
	.text
.Lfunc_end0:
	.size	bluestein_single_back_len1750_dim1_dp_op_CI_CI, .Lfunc_end0-bluestein_single_back_len1750_dim1_dp_op_CI_CI
                                        ; -- End function
	.section	.AMDGPU.csdata,"",@progbits
; Kernel info:
; codeLenInByte = 17148
; NumSgprs: 44
; NumVgprs: 256
; ScratchSize: 96
; MemoryBound: 0
; FloatMode: 240
; IeeeMode: 1
; LDSByteSize: 28000 bytes/workgroup (compile time only)
; SGPRBlocks: 5
; VGPRBlocks: 63
; NumSGPRsForWavesPerEU: 44
; NumVGPRsForWavesPerEU: 256
; Occupancy: 1
; WaveLimiterHint : 1
; COMPUTE_PGM_RSRC2:SCRATCH_EN: 1
; COMPUTE_PGM_RSRC2:USER_SGPR: 6
; COMPUTE_PGM_RSRC2:TRAP_HANDLER: 0
; COMPUTE_PGM_RSRC2:TGID_X_EN: 1
; COMPUTE_PGM_RSRC2:TGID_Y_EN: 0
; COMPUTE_PGM_RSRC2:TGID_Z_EN: 0
; COMPUTE_PGM_RSRC2:TIDIG_COMP_CNT: 0
	.type	__hip_cuid_f5432ebfaf204934,@object ; @__hip_cuid_f5432ebfaf204934
	.section	.bss,"aw",@nobits
	.globl	__hip_cuid_f5432ebfaf204934
__hip_cuid_f5432ebfaf204934:
	.byte	0                               ; 0x0
	.size	__hip_cuid_f5432ebfaf204934, 1

	.ident	"AMD clang version 19.0.0git (https://github.com/RadeonOpenCompute/llvm-project roc-6.4.0 25133 c7fe45cf4b819c5991fe208aaa96edf142730f1d)"
	.section	".note.GNU-stack","",@progbits
	.addrsig
	.addrsig_sym __hip_cuid_f5432ebfaf204934
	.amdgpu_metadata
---
amdhsa.kernels:
  - .args:
      - .actual_access:  read_only
        .address_space:  global
        .offset:         0
        .size:           8
        .value_kind:     global_buffer
      - .actual_access:  read_only
        .address_space:  global
        .offset:         8
        .size:           8
        .value_kind:     global_buffer
      - .actual_access:  read_only
        .address_space:  global
        .offset:         16
        .size:           8
        .value_kind:     global_buffer
      - .actual_access:  read_only
        .address_space:  global
        .offset:         24
        .size:           8
        .value_kind:     global_buffer
      - .actual_access:  read_only
        .address_space:  global
        .offset:         32
        .size:           8
        .value_kind:     global_buffer
      - .offset:         40
        .size:           8
        .value_kind:     by_value
      - .address_space:  global
        .offset:         48
        .size:           8
        .value_kind:     global_buffer
      - .address_space:  global
        .offset:         56
        .size:           8
        .value_kind:     global_buffer
      - .address_space:  global
        .offset:         64
        .size:           8
        .value_kind:     global_buffer
      - .address_space:  global
        .offset:         72
        .size:           8
        .value_kind:     global_buffer
      - .offset:         80
        .size:           4
        .value_kind:     by_value
      - .address_space:  global
        .offset:         88
        .size:           8
        .value_kind:     global_buffer
      - .address_space:  global
        .offset:         96
        .size:           8
        .value_kind:     global_buffer
    .group_segment_fixed_size: 28000
    .kernarg_segment_align: 8
    .kernarg_segment_size: 104
    .language:       OpenCL C
    .language_version:
      - 2
      - 0
    .max_flat_workgroup_size: 175
    .name:           bluestein_single_back_len1750_dim1_dp_op_CI_CI
    .private_segment_fixed_size: 96
    .sgpr_count:     44
    .sgpr_spill_count: 0
    .symbol:         bluestein_single_back_len1750_dim1_dp_op_CI_CI.kd
    .uniform_work_group_size: 1
    .uses_dynamic_stack: false
    .vgpr_count:     256
    .vgpr_spill_count: 23
    .wavefront_size: 64
amdhsa.target:   amdgcn-amd-amdhsa--gfx906
amdhsa.version:
  - 1
  - 2
...

	.end_amdgpu_metadata
